;; amdgpu-corpus repo=ROCm/rocFFT kind=compiled arch=gfx1201 opt=O3
	.text
	.amdgcn_target "amdgcn-amd-amdhsa--gfx1201"
	.amdhsa_code_object_version 6
	.protected	fft_rtc_back_len578_factors_17_17_2_wgs_238_tpt_34_halfLds_dp_ip_CI_unitstride_sbrr_R2C_dirReg ; -- Begin function fft_rtc_back_len578_factors_17_17_2_wgs_238_tpt_34_halfLds_dp_ip_CI_unitstride_sbrr_R2C_dirReg
	.globl	fft_rtc_back_len578_factors_17_17_2_wgs_238_tpt_34_halfLds_dp_ip_CI_unitstride_sbrr_R2C_dirReg
	.p2align	8
	.type	fft_rtc_back_len578_factors_17_17_2_wgs_238_tpt_34_halfLds_dp_ip_CI_unitstride_sbrr_R2C_dirReg,@function
fft_rtc_back_len578_factors_17_17_2_wgs_238_tpt_34_halfLds_dp_ip_CI_unitstride_sbrr_R2C_dirReg: ; @fft_rtc_back_len578_factors_17_17_2_wgs_238_tpt_34_halfLds_dp_ip_CI_unitstride_sbrr_R2C_dirReg
; %bb.0:
	s_load_b128 s[4:7], s[0:1], 0x0
	v_mul_u32_u24_e32 v1, 0x788, v0
	s_clause 0x1
	s_load_b64 s[8:9], s[0:1], 0x50
	s_load_b64 s[10:11], s[0:1], 0x18
	v_mov_b32_e32 v5, 0
	v_lshrrev_b32_e32 v1, 16, v1
	s_delay_alu instid0(VALU_DEP_1) | instskip(SKIP_3) | instid1(VALU_DEP_1)
	v_mad_co_u64_u32 v[1:2], null, ttmp9, 7, v[1:2]
	v_mov_b32_e32 v3, 0
	v_mov_b32_e32 v4, 0
	;; [unrolled: 1-line block ×4, first 2 shown]
	s_wait_kmcnt 0x0
	v_cmp_lt_u64_e64 s2, s[6:7], 2
	v_mov_b32_e32 v9, v1
	s_delay_alu instid0(VALU_DEP_2)
	s_and_b32 vcc_lo, exec_lo, s2
	s_cbranch_vccnz .LBB0_8
; %bb.1:
	s_load_b64 s[2:3], s[0:1], 0x10
	v_dual_mov_b32 v3, 0 :: v_dual_mov_b32 v8, v2
	v_dual_mov_b32 v4, 0 :: v_dual_mov_b32 v7, v1
	s_add_nc_u64 s[12:13], s[10:11], 8
	s_mov_b64 s[14:15], 1
	s_wait_kmcnt 0x0
	s_add_nc_u64 s[16:17], s[2:3], 8
	s_mov_b32 s3, 0
.LBB0_2:                                ; =>This Inner Loop Header: Depth=1
	s_load_b64 s[18:19], s[16:17], 0x0
                                        ; implicit-def: $vgpr9_vgpr10
	s_mov_b32 s2, exec_lo
	s_wait_kmcnt 0x0
	v_or_b32_e32 v6, s19, v8
	s_delay_alu instid0(VALU_DEP_1)
	v_cmpx_ne_u64_e32 0, v[5:6]
	s_wait_alu 0xfffe
	s_xor_b32 s20, exec_lo, s2
	s_cbranch_execz .LBB0_4
; %bb.3:                                ;   in Loop: Header=BB0_2 Depth=1
	s_cvt_f32_u32 s2, s18
	s_cvt_f32_u32 s21, s19
	s_sub_nc_u64 s[24:25], 0, s[18:19]
	s_wait_alu 0xfffe
	s_delay_alu instid0(SALU_CYCLE_1) | instskip(SKIP_1) | instid1(SALU_CYCLE_2)
	s_fmamk_f32 s2, s21, 0x4f800000, s2
	s_wait_alu 0xfffe
	v_s_rcp_f32 s2, s2
	s_delay_alu instid0(TRANS32_DEP_1) | instskip(SKIP_1) | instid1(SALU_CYCLE_2)
	s_mul_f32 s2, s2, 0x5f7ffffc
	s_wait_alu 0xfffe
	s_mul_f32 s21, s2, 0x2f800000
	s_wait_alu 0xfffe
	s_delay_alu instid0(SALU_CYCLE_2) | instskip(SKIP_1) | instid1(SALU_CYCLE_2)
	s_trunc_f32 s21, s21
	s_wait_alu 0xfffe
	s_fmamk_f32 s2, s21, 0xcf800000, s2
	s_cvt_u32_f32 s23, s21
	s_wait_alu 0xfffe
	s_delay_alu instid0(SALU_CYCLE_1) | instskip(SKIP_1) | instid1(SALU_CYCLE_2)
	s_cvt_u32_f32 s22, s2
	s_wait_alu 0xfffe
	s_mul_u64 s[26:27], s[24:25], s[22:23]
	s_wait_alu 0xfffe
	s_mul_hi_u32 s29, s22, s27
	s_mul_i32 s28, s22, s27
	s_mul_hi_u32 s2, s22, s26
	s_mul_i32 s30, s23, s26
	s_wait_alu 0xfffe
	s_add_nc_u64 s[28:29], s[2:3], s[28:29]
	s_mul_hi_u32 s21, s23, s26
	s_mul_hi_u32 s31, s23, s27
	s_add_co_u32 s2, s28, s30
	s_wait_alu 0xfffe
	s_add_co_ci_u32 s2, s29, s21
	s_mul_i32 s26, s23, s27
	s_add_co_ci_u32 s27, s31, 0
	s_wait_alu 0xfffe
	s_add_nc_u64 s[26:27], s[2:3], s[26:27]
	s_wait_alu 0xfffe
	v_add_co_u32 v2, s2, s22, s26
	s_delay_alu instid0(VALU_DEP_1) | instskip(SKIP_1) | instid1(VALU_DEP_1)
	s_cmp_lg_u32 s2, 0
	s_add_co_ci_u32 s23, s23, s27
	v_readfirstlane_b32 s22, v2
	s_wait_alu 0xfffe
	s_delay_alu instid0(VALU_DEP_1)
	s_mul_u64 s[24:25], s[24:25], s[22:23]
	s_wait_alu 0xfffe
	s_mul_hi_u32 s27, s22, s25
	s_mul_i32 s26, s22, s25
	s_mul_hi_u32 s2, s22, s24
	s_mul_i32 s28, s23, s24
	s_wait_alu 0xfffe
	s_add_nc_u64 s[26:27], s[2:3], s[26:27]
	s_mul_hi_u32 s21, s23, s24
	s_mul_hi_u32 s22, s23, s25
	s_wait_alu 0xfffe
	s_add_co_u32 s2, s26, s28
	s_add_co_ci_u32 s2, s27, s21
	s_mul_i32 s24, s23, s25
	s_add_co_ci_u32 s25, s22, 0
	s_wait_alu 0xfffe
	s_add_nc_u64 s[24:25], s[2:3], s[24:25]
	s_wait_alu 0xfffe
	v_add_co_u32 v2, s2, v2, s24
	s_delay_alu instid0(VALU_DEP_1) | instskip(SKIP_1) | instid1(VALU_DEP_1)
	s_cmp_lg_u32 s2, 0
	s_add_co_ci_u32 s2, s23, s25
	v_mul_hi_u32 v6, v7, v2
	s_wait_alu 0xfffe
	v_mad_co_u64_u32 v[9:10], null, v7, s2, 0
	v_mad_co_u64_u32 v[11:12], null, v8, v2, 0
	;; [unrolled: 1-line block ×3, first 2 shown]
	s_delay_alu instid0(VALU_DEP_3) | instskip(SKIP_1) | instid1(VALU_DEP_4)
	v_add_co_u32 v2, vcc_lo, v6, v9
	s_wait_alu 0xfffd
	v_add_co_ci_u32_e32 v6, vcc_lo, 0, v10, vcc_lo
	s_delay_alu instid0(VALU_DEP_2) | instskip(SKIP_1) | instid1(VALU_DEP_2)
	v_add_co_u32 v2, vcc_lo, v2, v11
	s_wait_alu 0xfffd
	v_add_co_ci_u32_e32 v2, vcc_lo, v6, v12, vcc_lo
	s_wait_alu 0xfffd
	v_add_co_ci_u32_e32 v6, vcc_lo, 0, v14, vcc_lo
	s_delay_alu instid0(VALU_DEP_2) | instskip(SKIP_1) | instid1(VALU_DEP_2)
	v_add_co_u32 v2, vcc_lo, v2, v13
	s_wait_alu 0xfffd
	v_add_co_ci_u32_e32 v6, vcc_lo, 0, v6, vcc_lo
	s_delay_alu instid0(VALU_DEP_2) | instskip(SKIP_1) | instid1(VALU_DEP_3)
	v_mul_lo_u32 v11, s19, v2
	v_mad_co_u64_u32 v[9:10], null, s18, v2, 0
	v_mul_lo_u32 v12, s18, v6
	s_delay_alu instid0(VALU_DEP_2) | instskip(NEXT) | instid1(VALU_DEP_2)
	v_sub_co_u32 v9, vcc_lo, v7, v9
	v_add3_u32 v10, v10, v12, v11
	s_delay_alu instid0(VALU_DEP_1) | instskip(SKIP_1) | instid1(VALU_DEP_1)
	v_sub_nc_u32_e32 v11, v8, v10
	s_wait_alu 0xfffd
	v_subrev_co_ci_u32_e64 v11, s2, s19, v11, vcc_lo
	v_add_co_u32 v12, s2, v2, 2
	s_wait_alu 0xf1ff
	v_add_co_ci_u32_e64 v13, s2, 0, v6, s2
	v_sub_co_u32 v14, s2, v9, s18
	v_sub_co_ci_u32_e32 v10, vcc_lo, v8, v10, vcc_lo
	s_wait_alu 0xf1ff
	v_subrev_co_ci_u32_e64 v11, s2, 0, v11, s2
	s_delay_alu instid0(VALU_DEP_3) | instskip(NEXT) | instid1(VALU_DEP_3)
	v_cmp_le_u32_e32 vcc_lo, s18, v14
	v_cmp_eq_u32_e64 s2, s19, v10
	s_wait_alu 0xfffd
	v_cndmask_b32_e64 v14, 0, -1, vcc_lo
	v_cmp_le_u32_e32 vcc_lo, s19, v11
	s_wait_alu 0xfffd
	v_cndmask_b32_e64 v15, 0, -1, vcc_lo
	v_cmp_le_u32_e32 vcc_lo, s18, v9
	;; [unrolled: 3-line block ×3, first 2 shown]
	s_wait_alu 0xfffd
	v_cndmask_b32_e64 v16, 0, -1, vcc_lo
	v_cmp_eq_u32_e32 vcc_lo, s19, v11
	s_wait_alu 0xf1ff
	s_delay_alu instid0(VALU_DEP_2)
	v_cndmask_b32_e64 v9, v16, v9, s2
	s_wait_alu 0xfffd
	v_cndmask_b32_e32 v11, v15, v14, vcc_lo
	v_add_co_u32 v14, vcc_lo, v2, 1
	s_wait_alu 0xfffd
	v_add_co_ci_u32_e32 v15, vcc_lo, 0, v6, vcc_lo
	s_delay_alu instid0(VALU_DEP_3) | instskip(SKIP_1) | instid1(VALU_DEP_2)
	v_cmp_ne_u32_e32 vcc_lo, 0, v11
	s_wait_alu 0xfffd
	v_dual_cndmask_b32 v10, v15, v13 :: v_dual_cndmask_b32 v11, v14, v12
	v_cmp_ne_u32_e32 vcc_lo, 0, v9
	s_wait_alu 0xfffd
	s_delay_alu instid0(VALU_DEP_2) | instskip(NEXT) | instid1(VALU_DEP_3)
	v_cndmask_b32_e32 v10, v6, v10, vcc_lo
	v_cndmask_b32_e32 v9, v2, v11, vcc_lo
.LBB0_4:                                ;   in Loop: Header=BB0_2 Depth=1
	s_wait_alu 0xfffe
	s_and_not1_saveexec_b32 s2, s20
	s_cbranch_execz .LBB0_6
; %bb.5:                                ;   in Loop: Header=BB0_2 Depth=1
	v_cvt_f32_u32_e32 v2, s18
	s_sub_co_i32 s20, 0, s18
	s_delay_alu instid0(VALU_DEP_1) | instskip(NEXT) | instid1(TRANS32_DEP_1)
	v_rcp_iflag_f32_e32 v2, v2
	v_mul_f32_e32 v2, 0x4f7ffffe, v2
	s_delay_alu instid0(VALU_DEP_1) | instskip(SKIP_1) | instid1(VALU_DEP_1)
	v_cvt_u32_f32_e32 v2, v2
	s_wait_alu 0xfffe
	v_mul_lo_u32 v6, s20, v2
	s_delay_alu instid0(VALU_DEP_1) | instskip(NEXT) | instid1(VALU_DEP_1)
	v_mul_hi_u32 v6, v2, v6
	v_add_nc_u32_e32 v2, v2, v6
	s_delay_alu instid0(VALU_DEP_1) | instskip(NEXT) | instid1(VALU_DEP_1)
	v_mul_hi_u32 v2, v7, v2
	v_mul_lo_u32 v6, v2, s18
	v_add_nc_u32_e32 v9, 1, v2
	s_delay_alu instid0(VALU_DEP_2) | instskip(NEXT) | instid1(VALU_DEP_1)
	v_sub_nc_u32_e32 v6, v7, v6
	v_subrev_nc_u32_e32 v10, s18, v6
	v_cmp_le_u32_e32 vcc_lo, s18, v6
	s_wait_alu 0xfffd
	s_delay_alu instid0(VALU_DEP_2) | instskip(SKIP_2) | instid1(VALU_DEP_3)
	v_cndmask_b32_e32 v6, v6, v10, vcc_lo
	v_mov_b32_e32 v10, v5
	v_cndmask_b32_e32 v2, v2, v9, vcc_lo
	v_cmp_le_u32_e32 vcc_lo, s18, v6
	s_delay_alu instid0(VALU_DEP_2) | instskip(SKIP_1) | instid1(VALU_DEP_1)
	v_add_nc_u32_e32 v9, 1, v2
	s_wait_alu 0xfffd
	v_cndmask_b32_e32 v9, v2, v9, vcc_lo
.LBB0_6:                                ;   in Loop: Header=BB0_2 Depth=1
	s_wait_alu 0xfffe
	s_or_b32 exec_lo, exec_lo, s2
	s_load_b64 s[20:21], s[12:13], 0x0
	v_mul_lo_u32 v2, v10, s18
	v_mul_lo_u32 v6, v9, s19
	v_mad_co_u64_u32 v[11:12], null, v9, s18, 0
	s_add_nc_u64 s[14:15], s[14:15], 1
	s_add_nc_u64 s[12:13], s[12:13], 8
	s_wait_alu 0xfffe
	v_cmp_ge_u64_e64 s2, s[14:15], s[6:7]
	s_add_nc_u64 s[16:17], s[16:17], 8
	s_delay_alu instid0(VALU_DEP_2) | instskip(NEXT) | instid1(VALU_DEP_3)
	v_add3_u32 v2, v12, v6, v2
	v_sub_co_u32 v6, vcc_lo, v7, v11
	s_wait_alu 0xfffd
	s_delay_alu instid0(VALU_DEP_2) | instskip(SKIP_3) | instid1(VALU_DEP_2)
	v_sub_co_ci_u32_e32 v2, vcc_lo, v8, v2, vcc_lo
	s_and_b32 vcc_lo, exec_lo, s2
	s_wait_kmcnt 0x0
	v_mul_lo_u32 v7, s21, v6
	v_mul_lo_u32 v2, s20, v2
	v_mad_co_u64_u32 v[3:4], null, s20, v6, v[3:4]
	s_delay_alu instid0(VALU_DEP_1)
	v_add3_u32 v4, v7, v4, v2
	s_wait_alu 0xfffe
	s_cbranch_vccnz .LBB0_8
; %bb.7:                                ;   in Loop: Header=BB0_2 Depth=1
	v_dual_mov_b32 v7, v9 :: v_dual_mov_b32 v8, v10
	s_branch .LBB0_2
.LBB0_8:
	v_mul_hi_u32 v2, 0x24924925, v1
	s_lshl_b64 s[2:3], s[6:7], 3
	v_mul_hi_u32 v5, 0x7878788, v0
	s_wait_alu 0xfffe
	s_add_nc_u64 s[2:3], s[10:11], s[2:3]
	s_load_b64 s[0:1], s[0:1], 0x20
	s_load_b64 s[2:3], s[2:3], 0x0
	s_delay_alu instid0(VALU_DEP_2) | instskip(NEXT) | instid1(VALU_DEP_2)
	v_sub_nc_u32_e32 v6, v1, v2
	v_mul_u32_u24_e32 v5, 34, v5
	s_delay_alu instid0(VALU_DEP_2) | instskip(NEXT) | instid1(VALU_DEP_2)
	v_lshrrev_b32_e32 v6, 1, v6
	v_sub_nc_u32_e32 v72, v0, v5
	s_delay_alu instid0(VALU_DEP_2) | instskip(NEXT) | instid1(VALU_DEP_2)
	v_add_nc_u32_e32 v0, v6, v2
	v_add_nc_u32_e32 v86, 34, v72
	;; [unrolled: 1-line block ×4, first 2 shown]
	s_delay_alu instid0(VALU_DEP_4)
	v_lshrrev_b32_e32 v0, 2, v0
	s_wait_kmcnt 0x0
	v_cmp_gt_u64_e32 vcc_lo, s[0:1], v[9:10]
	v_mul_lo_u32 v5, s2, v10
	v_mul_lo_u32 v6, s3, v9
	v_mad_co_u64_u32 v[2:3], null, s2, v9, v[3:4]
	v_mul_lo_u32 v0, v0, 7
	v_cmp_le_u64_e64 s0, s[0:1], v[9:10]
	v_add_nc_u32_e32 v81, 0x88, v72
	v_add_nc_u32_e32 v80, 0xaa, v72
	;; [unrolled: 1-line block ×4, first 2 shown]
	v_add3_u32 v3, v6, v3, v5
	v_add_nc_u32_e32 v74, 0x110, v72
	v_sub_nc_u32_e32 v0, v1, v0
	s_and_saveexec_b32 s1, s0
	s_wait_alu 0xfffe
	s_xor_b32 s0, exec_lo, s1
; %bb.9:
	v_add_nc_u32_e32 v86, 34, v72
	v_add_nc_u32_e32 v84, 0x44, v72
	v_add_nc_u32_e32 v82, 0x66, v72
	v_add_nc_u32_e32 v81, 0x88, v72
	v_add_nc_u32_e32 v80, 0xaa, v72
	v_add_nc_u32_e32 v78, 0xcc, v72
	v_add_nc_u32_e32 v77, 0xee, v72
	v_add_nc_u32_e32 v74, 0x110, v72
; %bb.10:
	s_wait_alu 0xfffe
	s_or_saveexec_b32 s1, s0
	v_mul_u32_u24_e32 v0, 0x243, v0
	v_lshlrev_b64_e32 v[1:2], 4, v[2:3]
	v_lshlrev_b32_e32 v69, 4, v72
	s_delay_alu instid0(VALU_DEP_3)
	v_lshlrev_b32_e32 v79, 4, v0
	scratch_store_b64 off, v[1:2], off      ; 8-byte Folded Spill
	s_wait_alu 0xfffe
	s_xor_b32 exec_lo, exec_lo, s1
	s_cbranch_execz .LBB0_12
; %bb.11:
	scratch_load_b64 v[2:3], off, off       ; 8-byte Folded Reload
	v_mov_b32_e32 v73, 0
	v_add3_u32 v68, 0, v79, v69
	s_delay_alu instid0(VALU_DEP_2) | instskip(SKIP_4) | instid1(VALU_DEP_2)
	v_lshlrev_b64_e32 v[0:1], 4, v[72:73]
	s_wait_loadcnt 0x0
	v_add_co_u32 v2, s0, s8, v2
	s_wait_alu 0xf1ff
	v_add_co_ci_u32_e64 v3, s0, s9, v3, s0
	v_add_co_u32 v64, s0, v2, v0
	s_wait_alu 0xf1ff
	s_delay_alu instid0(VALU_DEP_2)
	v_add_co_ci_u32_e64 v65, s0, v3, v1, s0
	s_clause 0x10
	global_load_b128 v[0:3], v[64:65], off
	global_load_b128 v[4:7], v[64:65], off offset:544
	global_load_b128 v[8:11], v[64:65], off offset:1088
	;; [unrolled: 1-line block ×16, first 2 shown]
	s_wait_loadcnt 0x10
	ds_store_b128 v68, v[0:3]
	s_wait_loadcnt 0xf
	ds_store_b128 v68, v[4:7] offset:544
	s_wait_loadcnt 0xe
	ds_store_b128 v68, v[8:11] offset:1088
	;; [unrolled: 2-line block ×16, first 2 shown]
.LBB0_12:
	s_or_b32 exec_lo, exec_lo, s1
	v_add_nc_u32_e32 v233, 0, v79
	v_add3_u32 v234, 0, v69, v79
	global_wb scope:SCOPE_SE
	s_wait_storecnt_dscnt 0x0
	scratch_store_b32 off, v69, off offset:8 ; 4-byte Folded Spill
	s_wait_storecnt 0x0
	s_barrier_signal -1
	v_add_nc_u32_e32 v231, v233, v69
	s_barrier_wait -1
	global_inv scope:SCOPE_SE
	s_mov_b32 s10, 0x6c9a05f6
	ds_load_b128 v[4:7], v234 offset:544
	ds_load_b128 v[0:3], v231
	ds_load_b128 v[8:11], v234 offset:1088
	ds_load_b128 v[12:15], v234 offset:1632
	s_mov_b32 s11, 0xbfe9895b
	s_mov_b32 s46, 0x5d8e7cdc
	;; [unrolled: 1-line block ×18, first 2 shown]
	s_wait_dscnt 0x2
	v_add_f64_e32 v[16:17], v[0:1], v[4:5]
	v_add_f64_e32 v[18:19], v[2:3], v[6:7]
	s_mov_b32 s23, 0xbfeb34fa
	s_mov_b32 s36, 0x370991
	;; [unrolled: 1-line block ×14, first 2 shown]
	s_wait_alu 0xfffe
	s_mov_b32 s52, s6
	s_mov_b32 s43, 0x3fd71e95
	;; [unrolled: 1-line block ×15, first 2 shown]
	v_cmp_gt_u32_e64 s0, 17, v72
	v_mov_b32_e32 v83, v74
	s_wait_dscnt 0x1
	s_delay_alu instid0(VALU_DEP_4) | instskip(NEXT) | instid1(VALU_DEP_4)
	v_add_f64_e32 v[16:17], v[16:17], v[8:9]
	v_add_f64_e32 v[18:19], v[18:19], v[10:11]
	s_wait_dscnt 0x0
	s_delay_alu instid0(VALU_DEP_2) | instskip(NEXT) | instid1(VALU_DEP_2)
	v_add_f64_e32 v[24:25], v[16:17], v[12:13]
	v_add_f64_e32 v[26:27], v[18:19], v[14:15]
	ds_load_b128 v[16:19], v234 offset:2176
	ds_load_b128 v[20:23], v234 offset:2720
	s_wait_dscnt 0x1
	v_add_f64_e32 v[24:25], v[24:25], v[16:17]
	v_add_f64_e32 v[26:27], v[26:27], v[18:19]
	s_wait_dscnt 0x0
	s_delay_alu instid0(VALU_DEP_2) | instskip(NEXT) | instid1(VALU_DEP_2)
	v_add_f64_e32 v[32:33], v[24:25], v[20:21]
	v_add_f64_e32 v[34:35], v[26:27], v[22:23]
	ds_load_b128 v[24:27], v234 offset:3264
	ds_load_b128 v[28:31], v234 offset:3808
	s_wait_dscnt 0x1
	;; [unrolled: 9-line block ×3, first 2 shown]
	v_add_f64_e32 v[60:61], v[34:35], v[38:39]
	v_add_f64_e64 v[62:63], v[34:35], -v[38:39]
	v_add_f64_e32 v[44:45], v[40:41], v[32:33]
	v_add_f64_e32 v[46:47], v[42:43], v[34:35]
	;; [unrolled: 1-line block ×3, first 2 shown]
	v_add_f64_e64 v[42:43], v[32:33], -v[36:37]
	s_delay_alu instid0(VALU_DEP_4) | instskip(NEXT) | instid1(VALU_DEP_4)
	v_add_f64_e32 v[48:49], v[44:45], v[36:37]
	v_add_f64_e32 v[50:51], v[46:47], v[38:39]
	ds_load_b128 v[32:35], v234 offset:5440
	ds_load_b128 v[36:39], v234 offset:5984
	s_wait_dscnt 0x1
	v_add_f64_e32 v[44:45], v[28:29], v[32:33]
	v_add_f64_e32 v[87:88], v[30:31], v[34:35]
	v_add_f64_e64 v[46:47], v[28:29], -v[32:33]
	v_add_f64_e64 v[89:90], v[30:31], -v[34:35]
	s_wait_dscnt 0x0
	v_add_f64_e32 v[91:92], v[26:27], v[38:39]
	v_add_f64_e64 v[93:94], v[26:27], -v[38:39]
	v_add_f64_e32 v[28:29], v[48:49], v[32:33]
	v_add_f64_e32 v[30:31], v[50:51], v[34:35]
	;; [unrolled: 1-line block ×3, first 2 shown]
	v_add_f64_e64 v[50:51], v[24:25], -v[36:37]
	s_delay_alu instid0(VALU_DEP_4) | instskip(NEXT) | instid1(VALU_DEP_4)
	v_add_f64_e32 v[32:33], v[28:29], v[36:37]
	v_add_f64_e32 v[34:35], v[30:31], v[38:39]
	ds_load_b128 v[24:27], v234 offset:6528
	ds_load_b128 v[28:31], v234 offset:7072
	s_wait_dscnt 0x1
	v_add_f64_e32 v[52:53], v[20:21], v[24:25]
	v_add_f64_e32 v[95:96], v[22:23], v[26:27]
	v_add_f64_e64 v[54:55], v[20:21], -v[24:25]
	v_add_f64_e64 v[97:98], v[22:23], -v[26:27]
	s_wait_dscnt 0x0
	v_add_f64_e32 v[56:57], v[16:17], v[28:29]
	v_add_f64_e32 v[99:100], v[18:19], v[30:31]
	v_add_f64_e64 v[58:59], v[16:17], -v[28:29]
	v_add_f64_e64 v[101:102], v[18:19], -v[30:31]
	v_add_f64_e32 v[20:21], v[32:33], v[24:25]
	v_add_f64_e32 v[22:23], v[34:35], v[26:27]
	s_delay_alu instid0(VALU_DEP_2) | instskip(NEXT) | instid1(VALU_DEP_2)
	v_add_f64_e32 v[24:25], v[20:21], v[28:29]
	v_add_f64_e32 v[26:27], v[22:23], v[30:31]
	ds_load_b128 v[16:19], v234 offset:7616
	ds_load_b128 v[20:23], v234 offset:8160
	s_wait_dscnt 0x1
	v_add_f64_e32 v[64:65], v[12:13], v[16:17]
	s_wait_dscnt 0x0
	v_add_f64_e32 v[68:69], v[8:9], v[20:21]
	v_add_f64_e32 v[107:108], v[10:11], v[22:23]
	v_add_f64_e64 v[70:71], v[8:9], -v[20:21]
	v_add_f64_e64 v[109:110], v[10:11], -v[22:23]
	ds_load_b128 v[8:11], v234 offset:8704
	v_add_f64_e32 v[103:104], v[14:15], v[18:19]
	v_add_f64_e64 v[66:67], v[12:13], -v[16:17]
	v_add_f64_e64 v[105:106], v[14:15], -v[18:19]
	global_wb scope:SCOPE_SE
	s_wait_dscnt 0x0
	s_barrier_signal -1
	s_barrier_wait -1
	global_inv scope:SCOPE_SE
	v_add_f64_e32 v[12:13], v[24:25], v[16:17]
	v_add_f64_e32 v[14:15], v[26:27], v[18:19]
	v_add_f64_e64 v[16:17], v[6:7], -v[10:11]
	v_add_f64_e32 v[18:19], v[4:5], v[8:9]
	v_add_f64_e32 v[6:7], v[6:7], v[10:11]
	v_add_f64_e64 v[4:5], v[4:5], -v[8:9]
	v_add_f64_e32 v[12:13], v[12:13], v[20:21]
	v_add_f64_e32 v[14:15], v[14:15], v[22:23]
	v_mul_f64_e32 v[26:27], s[10:11], v[16:17]
	v_mul_f64_e32 v[20:21], s[16:17], v[16:17]
	;; [unrolled: 1-line block ×11, first 2 shown]
	v_add_f64_e32 v[12:13], v[12:13], v[8:9]
	v_add_f64_e32 v[14:15], v[14:15], v[10:11]
	v_mul_f64_e32 v[8:9], s[46:47], v[16:17]
	v_mul_f64_e32 v[10:11], s[20:21], v[16:17]
	v_mul_f64_e32 v[16:17], s[2:3], v[16:17]
	v_fma_f64 v[115:116], v[18:19], s[24:25], v[26:27]
	v_fma_f64 v[34:35], v[18:19], s[30:31], v[20:21]
	v_fma_f64 v[20:21], v[18:19], s[30:31], -v[20:21]
	v_fma_f64 v[36:37], v[18:19], s[28:29], v[22:23]
	v_fma_f64 v[22:23], v[18:19], s[28:29], -v[22:23]
	;; [unrolled: 2-line block ×3, first 2 shown]
	v_fma_f64 v[26:27], v[18:19], s[24:25], -v[26:27]
	v_fma_f64 v[117:118], v[18:19], s[22:23], v[28:29]
	v_fma_f64 v[28:29], v[18:19], s[22:23], -v[28:29]
	v_fma_f64 v[145:146], v[4:5], s[52:53], v[127:128]
	v_fma_f64 v[131:132], v[4:5], s[44:45], v[111:112]
	v_fma_f64 v[133:134], v[4:5], s[20:21], v[111:112]
	v_fma_f64 v[135:136], v[4:5], s[40:41], v[113:114]
	v_fma_f64 v[137:138], v[4:5], s[16:17], v[113:114]
	v_fma_f64 v[139:140], v[4:5], s[38:39], v[121:122]
	v_fma_f64 v[121:122], v[4:5], s[14:15], v[121:122]
	v_fma_f64 v[141:142], v[4:5], s[48:49], v[123:124]
	v_fma_f64 v[123:124], v[4:5], s[12:13], v[123:124]
	v_fma_f64 v[143:144], v[4:5], s[50:51], v[125:126]
	v_fma_f64 v[125:126], v[4:5], s[10:11], v[125:126]
	v_fma_f64 v[127:128], v[4:5], s[6:7], v[127:128]
	v_fma_f64 v[30:31], v[18:19], s[36:37], v[8:9]
	v_fma_f64 v[8:9], v[18:19], s[36:37], -v[8:9]
	v_fma_f64 v[32:33], v[18:19], s[34:35], v[10:11]
	v_fma_f64 v[10:11], v[18:19], s[34:35], -v[10:11]
	v_fma_f64 v[119:120], v[18:19], s[18:19], v[16:17]
	v_fma_f64 v[16:17], v[18:19], s[18:19], -v[16:17]
	v_mul_f64_e32 v[18:19], s[36:37], v[6:7]
	v_mul_f64_e32 v[6:7], s[18:19], v[6:7]
	v_add_f64_e32 v[167:168], v[0:1], v[115:116]
	v_mul_f64_e32 v[115:116], s[20:21], v[109:110]
	v_add_f64_e32 v[34:35], v[0:1], v[34:35]
	v_add_f64_e32 v[20:21], v[0:1], v[20:21]
	;; [unrolled: 1-line block ×10, first 2 shown]
	v_mul_f64_e32 v[117:118], s[34:35], v[107:108]
	v_add_f64_e32 v[151:152], v[2:3], v[135:136]
	v_add_f64_e32 v[153:154], v[2:3], v[137:138]
	v_add_f64_e32 v[155:156], v[2:3], v[139:140]
	v_add_f64_e32 v[159:160], v[2:3], v[121:122]
	v_add_f64_e32 v[161:162], v[2:3], v[141:142]
	v_add_f64_e32 v[165:166], v[2:3], v[123:124]
	v_add_f64_e32 v[169:170], v[2:3], v[143:144]
	v_add_f64_e32 v[173:174], v[2:3], v[125:126]
	v_add_f64_e32 v[181:182], v[2:3], v[127:128]
	v_mul_f64_e32 v[121:122], s[30:31], v[103:104]
	v_mul_f64_e32 v[123:124], s[14:15], v[101:102]
	;; [unrolled: 1-line block ×8, first 2 shown]
	v_add_f64_e32 v[111:112], v[0:1], v[8:9]
	v_add_f64_e32 v[8:9], v[0:1], v[32:33]
	;; [unrolled: 1-line block ×5, first 2 shown]
	v_fma_f64 v[129:130], v[4:5], s[42:43], v[18:19]
	v_fma_f64 v[18:19], v[4:5], s[46:47], v[18:19]
	;; [unrolled: 1-line block ×4, first 2 shown]
	v_add_f64_e32 v[6:7], v[0:1], v[30:31]
	v_fma_f64 v[0:1], v[68:69], s[34:35], v[115:116]
	v_mul_f64_e32 v[119:120], s[16:17], v[105:106]
	v_add_f64_e32 v[32:33], v[2:3], v[133:134]
	v_mul_f64_e32 v[133:134], s[24:25], v[91:92]
	v_mul_f64_e32 v[16:17], s[14:15], v[109:110]
	v_add_f64_e32 v[30:31], v[2:3], v[129:130]
	v_add_f64_e32 v[113:114], v[2:3], v[18:19]
	;; [unrolled: 1-line block ×6, first 2 shown]
	v_fma_f64 v[2:3], v[70:71], s[44:45], v[117:118]
	v_fma_f64 v[4:5], v[64:65], s[30:31], v[119:120]
	v_mul_f64_e32 v[129:130], s[26:27], v[95:96]
	v_mul_f64_e32 v[131:132], s[10:11], v[93:94]
	s_delay_alu instid0(VALU_DEP_4) | instskip(NEXT) | instid1(VALU_DEP_4)
	v_add_f64_e32 v[2:3], v[2:3], v[30:31]
	v_add_f64_e32 v[0:1], v[4:5], v[0:1]
	v_fma_f64 v[4:5], v[66:67], s[40:41], v[121:122]
	s_delay_alu instid0(VALU_DEP_1) | instskip(SKIP_1) | instid1(VALU_DEP_1)
	v_add_f64_e32 v[2:3], v[4:5], v[2:3]
	v_fma_f64 v[4:5], v[56:57], s[28:29], v[123:124]
	v_add_f64_e32 v[0:1], v[4:5], v[0:1]
	v_fma_f64 v[4:5], v[58:59], s[38:39], v[125:126]
	s_delay_alu instid0(VALU_DEP_1) | instskip(SKIP_1) | instid1(VALU_DEP_1)
	v_add_f64_e32 v[2:3], v[4:5], v[2:3]
	v_fma_f64 v[4:5], v[52:53], s[26:27], v[127:128]
	;; [unrolled: 5-line block ×5, first 2 shown]
	v_add_f64_e32 v[0:1], v[4:5], v[0:1]
	v_fma_f64 v[4:5], v[42:43], s[54:55], v[141:142]
	s_delay_alu instid0(VALU_DEP_1) | instskip(SKIP_2) | instid1(VALU_DEP_2)
	v_add_f64_e32 v[2:3], v[4:5], v[2:3]
	v_fma_f64 v[4:5], v[68:69], s[28:29], v[16:17]
	v_fma_f64 v[16:17], v[68:69], s[28:29], -v[16:17]
	v_add_f64_e32 v[4:5], v[4:5], v[8:9]
	v_mul_f64_e32 v[8:9], s[28:29], v[107:108]
	s_delay_alu instid0(VALU_DEP_3) | instskip(NEXT) | instid1(VALU_DEP_2)
	v_add_f64_e32 v[10:11], v[16:17], v[10:11]
	v_fma_f64 v[6:7], v[70:71], s[38:39], v[8:9]
	v_fma_f64 v[8:9], v[70:71], s[14:15], v[8:9]
	s_delay_alu instid0(VALU_DEP_2) | instskip(SKIP_1) | instid1(VALU_DEP_3)
	v_add_f64_e32 v[6:7], v[6:7], v[18:19]
	v_mul_f64_e32 v[18:19], s[10:11], v[105:106]
	v_add_f64_e32 v[8:9], v[8:9], v[32:33]
	s_delay_alu instid0(VALU_DEP_2) | instskip(SKIP_1) | instid1(VALU_DEP_2)
	v_fma_f64 v[22:23], v[64:65], s[24:25], v[18:19]
	v_fma_f64 v[16:17], v[64:65], s[24:25], -v[18:19]
	v_add_f64_e32 v[4:5], v[22:23], v[4:5]
	v_mul_f64_e32 v[22:23], s[24:25], v[103:104]
	s_delay_alu instid0(VALU_DEP_3) | instskip(NEXT) | instid1(VALU_DEP_2)
	v_add_f64_e32 v[10:11], v[16:17], v[10:11]
	v_fma_f64 v[24:25], v[66:67], s[50:51], v[22:23]
	v_fma_f64 v[16:17], v[66:67], s[10:11], v[22:23]
	v_mul_f64_e32 v[22:23], s[10:11], v[109:110]
	s_delay_alu instid0(VALU_DEP_3) | instskip(SKIP_1) | instid1(VALU_DEP_4)
	v_add_f64_e32 v[6:7], v[24:25], v[6:7]
	v_mul_f64_e32 v[24:25], s[2:3], v[101:102]
	v_add_f64_e32 v[8:9], v[16:17], v[8:9]
	s_delay_alu instid0(VALU_DEP_2) | instskip(SKIP_2) | instid1(VALU_DEP_3)
	v_fma_f64 v[26:27], v[56:57], s[18:19], v[24:25]
	v_fma_f64 v[16:17], v[56:57], s[18:19], -v[24:25]
	v_mul_f64_e32 v[24:25], s[24:25], v[107:108]
	v_add_f64_e32 v[4:5], v[26:27], v[4:5]
	v_mul_f64_e32 v[26:27], s[18:19], v[99:100]
	s_delay_alu instid0(VALU_DEP_4) | instskip(NEXT) | instid1(VALU_DEP_2)
	v_add_f64_e32 v[10:11], v[16:17], v[10:11]
	v_fma_f64 v[28:29], v[58:59], s[54:55], v[26:27]
	v_fma_f64 v[16:17], v[58:59], s[2:3], v[26:27]
	v_mul_f64_e32 v[26:27], s[54:55], v[105:106]
	s_delay_alu instid0(VALU_DEP_3) | instskip(SKIP_1) | instid1(VALU_DEP_4)
	v_add_f64_e32 v[6:7], v[28:29], v[6:7]
	v_mul_f64_e32 v[28:29], s[52:53], v[97:98]
	v_add_f64_e32 v[8:9], v[16:17], v[8:9]
	s_delay_alu instid0(VALU_DEP_2) | instskip(SKIP_2) | instid1(VALU_DEP_3)
	v_fma_f64 v[30:31], v[52:53], s[22:23], v[28:29]
	v_fma_f64 v[16:17], v[52:53], s[22:23], -v[28:29]
	v_fma_f64 v[28:29], v[64:65], s[18:19], v[26:27]
	v_add_f64_e32 v[4:5], v[30:31], v[4:5]
	v_mul_f64_e32 v[30:31], s[22:23], v[95:96]
	s_delay_alu instid0(VALU_DEP_4) | instskip(NEXT) | instid1(VALU_DEP_2)
	v_add_f64_e32 v[10:11], v[16:17], v[10:11]
	v_fma_f64 v[183:184], v[54:55], s[6:7], v[30:31]
	v_fma_f64 v[16:17], v[54:55], s[52:53], v[30:31]
	s_delay_alu instid0(VALU_DEP_2) | instskip(SKIP_1) | instid1(VALU_DEP_3)
	v_add_f64_e32 v[6:7], v[183:184], v[6:7]
	v_mul_f64_e32 v[183:184], s[48:49], v[93:94]
	v_add_f64_e32 v[8:9], v[16:17], v[8:9]
	s_delay_alu instid0(VALU_DEP_2) | instskip(SKIP_1) | instid1(VALU_DEP_2)
	v_fma_f64 v[185:186], v[48:49], s[26:27], v[183:184]
	v_fma_f64 v[16:17], v[48:49], s[26:27], -v[183:184]
	v_add_f64_e32 v[4:5], v[185:186], v[4:5]
	v_mul_f64_e32 v[185:186], s[26:27], v[91:92]
	s_delay_alu instid0(VALU_DEP_3) | instskip(NEXT) | instid1(VALU_DEP_2)
	v_add_f64_e32 v[10:11], v[16:17], v[10:11]
	v_fma_f64 v[187:188], v[50:51], s[12:13], v[185:186]
	v_fma_f64 v[16:17], v[50:51], s[48:49], v[185:186]
	s_delay_alu instid0(VALU_DEP_2) | instskip(SKIP_1) | instid1(VALU_DEP_3)
	v_add_f64_e32 v[6:7], v[187:188], v[6:7]
	v_mul_f64_e32 v[187:188], s[40:41], v[89:90]
	v_add_f64_e32 v[8:9], v[16:17], v[8:9]
	s_delay_alu instid0(VALU_DEP_2) | instskip(SKIP_1) | instid1(VALU_DEP_2)
	v_fma_f64 v[189:190], v[44:45], s[30:31], v[187:188]
	v_fma_f64 v[16:17], v[44:45], s[30:31], -v[187:188]
	v_add_f64_e32 v[4:5], v[189:190], v[4:5]
	v_mul_f64_e32 v[189:190], s[30:31], v[87:88]
	s_delay_alu instid0(VALU_DEP_3) | instskip(NEXT) | instid1(VALU_DEP_2)
	;; [unrolled: 13-line block ×3, first 2 shown]
	v_add_f64_e32 v[8:9], v[8:9], v[10:11]
	v_fma_f64 v[18:19], v[42:43], s[42:43], v[193:194]
	v_fma_f64 v[195:196], v[42:43], s[46:47], v[193:194]
	s_delay_alu instid0(VALU_DEP_2) | instskip(SKIP_4) | instid1(VALU_DEP_4)
	v_add_f64_e32 v[10:11], v[18:19], v[16:17]
	v_fma_f64 v[16:17], v[68:69], s[24:25], v[22:23]
	v_fma_f64 v[18:19], v[70:71], s[50:51], v[24:25]
	v_fma_f64 v[22:23], v[68:69], s[24:25], -v[22:23]
	v_add_f64_e32 v[6:7], v[195:196], v[6:7]
	v_add_f64_e32 v[16:17], v[16:17], v[34:35]
	s_delay_alu instid0(VALU_DEP_4) | instskip(NEXT) | instid1(VALU_DEP_4)
	v_add_f64_e32 v[18:19], v[18:19], v[151:152]
	v_add_f64_e32 v[20:21], v[22:23], v[20:21]
	v_fma_f64 v[22:23], v[70:71], s[10:11], v[24:25]
	v_fma_f64 v[24:25], v[64:65], s[18:19], -v[26:27]
	v_add_f64_e32 v[16:17], v[28:29], v[16:17]
	v_mul_f64_e32 v[28:29], s[18:19], v[103:104]
	s_delay_alu instid0(VALU_DEP_4) | instskip(NEXT) | instid1(VALU_DEP_4)
	v_add_f64_e32 v[22:23], v[22:23], v[153:154]
	v_add_f64_e32 v[20:21], v[24:25], v[20:21]
	s_delay_alu instid0(VALU_DEP_3) | instskip(SKIP_2) | instid1(VALU_DEP_3)
	v_fma_f64 v[30:31], v[66:67], s[2:3], v[28:29]
	v_fma_f64 v[24:25], v[66:67], s[54:55], v[28:29]
	v_mul_f64_e32 v[28:29], s[2:3], v[109:110]
	v_add_f64_e32 v[18:19], v[30:31], v[18:19]
	v_mul_f64_e32 v[30:31], s[48:49], v[101:102]
	s_delay_alu instid0(VALU_DEP_4) | instskip(NEXT) | instid1(VALU_DEP_2)
	v_add_f64_e32 v[22:23], v[24:25], v[22:23]
	v_fma_f64 v[32:33], v[56:57], s[26:27], v[30:31]
	v_fma_f64 v[24:25], v[56:57], s[26:27], -v[30:31]
	v_mul_f64_e32 v[30:31], s[18:19], v[107:108]
	s_delay_alu instid0(VALU_DEP_3) | instskip(SKIP_1) | instid1(VALU_DEP_4)
	v_add_f64_e32 v[16:17], v[32:33], v[16:17]
	v_mul_f64_e32 v[32:33], s[26:27], v[99:100]
	v_add_f64_e32 v[20:21], v[24:25], v[20:21]
	s_delay_alu instid0(VALU_DEP_2) | instskip(SKIP_2) | instid1(VALU_DEP_3)
	v_fma_f64 v[34:35], v[58:59], s[12:13], v[32:33]
	v_fma_f64 v[24:25], v[58:59], s[48:49], v[32:33]
	v_mul_f64_e32 v[32:33], s[48:49], v[105:106]
	v_add_f64_e32 v[18:19], v[34:35], v[18:19]
	v_mul_f64_e32 v[34:35], s[44:45], v[97:98]
	s_delay_alu instid0(VALU_DEP_4) | instskip(NEXT) | instid1(VALU_DEP_2)
	v_add_f64_e32 v[22:23], v[24:25], v[22:23]
	v_fma_f64 v[151:152], v[52:53], s[34:35], v[34:35]
	v_fma_f64 v[24:25], v[52:53], s[34:35], -v[34:35]
	v_fma_f64 v[34:35], v[64:65], s[26:27], v[32:33]
	v_fma_f64 v[32:33], v[64:65], s[26:27], -v[32:33]
	s_delay_alu instid0(VALU_DEP_4) | instskip(SKIP_2) | instid1(VALU_DEP_2)
	v_add_f64_e32 v[16:17], v[151:152], v[16:17]
	v_mul_f64_e32 v[151:152], s[34:35], v[95:96]
	v_add_f64_e32 v[20:21], v[24:25], v[20:21]
	v_fma_f64 v[183:184], v[54:55], s[20:21], v[151:152]
	v_fma_f64 v[24:25], v[54:55], s[44:45], v[151:152]
	s_delay_alu instid0(VALU_DEP_2) | instskip(SKIP_1) | instid1(VALU_DEP_3)
	v_add_f64_e32 v[18:19], v[183:184], v[18:19]
	v_mul_f64_e32 v[183:184], s[46:47], v[93:94]
	v_add_f64_e32 v[22:23], v[24:25], v[22:23]
	s_delay_alu instid0(VALU_DEP_2) | instskip(SKIP_1) | instid1(VALU_DEP_2)
	v_fma_f64 v[185:186], v[48:49], s[36:37], v[183:184]
	v_fma_f64 v[24:25], v[48:49], s[36:37], -v[183:184]
	v_add_f64_e32 v[16:17], v[185:186], v[16:17]
	v_mul_f64_e32 v[185:186], s[36:37], v[91:92]
	s_delay_alu instid0(VALU_DEP_3) | instskip(NEXT) | instid1(VALU_DEP_2)
	v_add_f64_e32 v[20:21], v[24:25], v[20:21]
	v_fma_f64 v[187:188], v[50:51], s[42:43], v[185:186]
	v_fma_f64 v[24:25], v[50:51], s[46:47], v[185:186]
	s_delay_alu instid0(VALU_DEP_2) | instskip(SKIP_1) | instid1(VALU_DEP_3)
	v_add_f64_e32 v[18:19], v[187:188], v[18:19]
	v_mul_f64_e32 v[187:188], s[14:15], v[89:90]
	v_add_f64_e32 v[22:23], v[24:25], v[22:23]
	s_delay_alu instid0(VALU_DEP_2) | instskip(SKIP_1) | instid1(VALU_DEP_2)
	v_fma_f64 v[189:190], v[44:45], s[28:29], v[187:188]
	v_fma_f64 v[24:25], v[44:45], s[28:29], -v[187:188]
	v_add_f64_e32 v[16:17], v[189:190], v[16:17]
	v_mul_f64_e32 v[189:190], s[28:29], v[87:88]
	s_delay_alu instid0(VALU_DEP_3) | instskip(NEXT) | instid1(VALU_DEP_2)
	v_add_f64_e32 v[20:21], v[24:25], v[20:21]
	v_fma_f64 v[191:192], v[46:47], s[38:39], v[189:190]
	v_fma_f64 v[24:25], v[46:47], s[14:15], v[189:190]
	s_delay_alu instid0(VALU_DEP_2) | instskip(SKIP_1) | instid1(VALU_DEP_3)
	v_add_f64_e32 v[18:19], v[191:192], v[18:19]
	v_mul_f64_e32 v[191:192], s[6:7], v[62:63]
	v_add_f64_e32 v[22:23], v[24:25], v[22:23]
	s_delay_alu instid0(VALU_DEP_2) | instskip(SKIP_1) | instid1(VALU_DEP_2)
	v_fma_f64 v[193:194], v[40:41], s[22:23], v[191:192]
	v_fma_f64 v[24:25], v[40:41], s[22:23], -v[191:192]
	v_add_f64_e32 v[16:17], v[193:194], v[16:17]
	v_mul_f64_e32 v[193:194], s[22:23], v[60:61]
	s_delay_alu instid0(VALU_DEP_3) | instskip(SKIP_2) | instid1(VALU_DEP_4)
	v_add_f64_e32 v[20:21], v[24:25], v[20:21]
	v_fma_f64 v[24:25], v[68:69], s[18:19], v[28:29]
	v_fma_f64 v[28:29], v[68:69], s[18:19], -v[28:29]
	v_fma_f64 v[26:27], v[42:43], s[6:7], v[193:194]
	v_fma_f64 v[195:196], v[42:43], s[52:53], v[193:194]
	s_delay_alu instid0(VALU_DEP_4) | instskip(NEXT) | instid1(VALU_DEP_4)
	v_add_f64_e32 v[24:25], v[24:25], v[36:37]
	v_add_f64_e32 v[28:29], v[28:29], v[157:158]
	s_delay_alu instid0(VALU_DEP_4) | instskip(SKIP_1) | instid1(VALU_DEP_4)
	v_add_f64_e32 v[22:23], v[26:27], v[22:23]
	v_fma_f64 v[26:27], v[70:71], s[54:55], v[30:31]
	v_add_f64_e32 v[24:25], v[34:35], v[24:25]
	v_mul_f64_e32 v[34:35], s[26:27], v[103:104]
	v_fma_f64 v[30:31], v[70:71], s[2:3], v[30:31]
	v_add_f64_e32 v[28:29], v[32:33], v[28:29]
	v_add_f64_e32 v[18:19], v[195:196], v[18:19]
	;; [unrolled: 1-line block ×3, first 2 shown]
	v_fma_f64 v[36:37], v[66:67], s[12:13], v[34:35]
	v_add_f64_e32 v[30:31], v[30:31], v[159:160]
	v_fma_f64 v[32:33], v[66:67], s[48:49], v[34:35]
	s_delay_alu instid0(VALU_DEP_3) | instskip(SKIP_1) | instid1(VALU_DEP_3)
	v_add_f64_e32 v[26:27], v[36:37], v[26:27]
	v_mul_f64_e32 v[36:37], s[42:43], v[101:102]
	v_add_f64_e32 v[30:31], v[32:33], v[30:31]
	s_delay_alu instid0(VALU_DEP_2) | instskip(SKIP_2) | instid1(VALU_DEP_3)
	v_fma_f64 v[151:152], v[56:57], s[36:37], v[36:37]
	v_fma_f64 v[32:33], v[56:57], s[36:37], -v[36:37]
	v_mul_f64_e32 v[36:37], s[52:53], v[109:110]
	v_add_f64_e32 v[24:25], v[151:152], v[24:25]
	v_mul_f64_e32 v[151:152], s[36:37], v[99:100]
	s_delay_alu instid0(VALU_DEP_4) | instskip(NEXT) | instid1(VALU_DEP_2)
	v_add_f64_e32 v[28:29], v[32:33], v[28:29]
	v_fma_f64 v[153:154], v[58:59], s[46:47], v[151:152]
	v_fma_f64 v[32:33], v[58:59], s[42:43], v[151:152]
	v_mul_f64_e32 v[151:152], s[44:45], v[105:106]
	s_delay_alu instid0(VALU_DEP_3) | instskip(SKIP_1) | instid1(VALU_DEP_4)
	v_add_f64_e32 v[26:27], v[153:154], v[26:27]
	v_mul_f64_e32 v[153:154], s[16:17], v[97:98]
	v_add_f64_e32 v[30:31], v[32:33], v[30:31]
	s_delay_alu instid0(VALU_DEP_2) | instskip(SKIP_3) | instid1(VALU_DEP_4)
	v_fma_f64 v[155:156], v[52:53], s[30:31], v[153:154]
	v_fma_f64 v[32:33], v[52:53], s[30:31], -v[153:154]
	v_fma_f64 v[153:154], v[64:65], s[34:35], v[151:152]
	v_fma_f64 v[151:152], v[64:65], s[34:35], -v[151:152]
	v_add_f64_e32 v[24:25], v[155:156], v[24:25]
	v_mul_f64_e32 v[155:156], s[30:31], v[95:96]
	v_add_f64_e32 v[28:29], v[32:33], v[28:29]
	s_delay_alu instid0(VALU_DEP_2) | instskip(SKIP_1) | instid1(VALU_DEP_2)
	v_fma_f64 v[183:184], v[54:55], s[40:41], v[155:156]
	v_fma_f64 v[32:33], v[54:55], s[16:17], v[155:156]
	v_add_f64_e32 v[26:27], v[183:184], v[26:27]
	v_mul_f64_e32 v[183:184], s[6:7], v[93:94]
	s_delay_alu instid0(VALU_DEP_3) | instskip(NEXT) | instid1(VALU_DEP_2)
	v_add_f64_e32 v[30:31], v[32:33], v[30:31]
	v_fma_f64 v[185:186], v[48:49], s[22:23], v[183:184]
	v_fma_f64 v[32:33], v[48:49], s[22:23], -v[183:184]
	s_delay_alu instid0(VALU_DEP_2) | instskip(SKIP_1) | instid1(VALU_DEP_3)
	v_add_f64_e32 v[24:25], v[185:186], v[24:25]
	v_mul_f64_e32 v[185:186], s[22:23], v[91:92]
	v_add_f64_e32 v[28:29], v[32:33], v[28:29]
	s_delay_alu instid0(VALU_DEP_2) | instskip(SKIP_1) | instid1(VALU_DEP_2)
	v_fma_f64 v[187:188], v[50:51], s[52:53], v[185:186]
	v_fma_f64 v[32:33], v[50:51], s[6:7], v[185:186]
	v_add_f64_e32 v[26:27], v[187:188], v[26:27]
	v_mul_f64_e32 v[187:188], s[50:51], v[89:90]
	s_delay_alu instid0(VALU_DEP_3) | instskip(NEXT) | instid1(VALU_DEP_2)
	v_add_f64_e32 v[30:31], v[32:33], v[30:31]
	v_fma_f64 v[189:190], v[44:45], s[24:25], v[187:188]
	v_fma_f64 v[32:33], v[44:45], s[24:25], -v[187:188]
	s_delay_alu instid0(VALU_DEP_2) | instskip(SKIP_1) | instid1(VALU_DEP_3)
	;; [unrolled: 13-line block ×3, first 2 shown]
	v_add_f64_e32 v[24:25], v[193:194], v[24:25]
	v_mul_f64_e32 v[193:194], s[34:35], v[60:61]
	v_add_f64_e32 v[28:29], v[32:33], v[28:29]
	v_fma_f64 v[32:33], v[68:69], s[22:23], v[36:37]
	v_fma_f64 v[36:37], v[68:69], s[22:23], -v[36:37]
	s_delay_alu instid0(VALU_DEP_4) | instskip(SKIP_1) | instid1(VALU_DEP_4)
	v_fma_f64 v[34:35], v[42:43], s[44:45], v[193:194]
	v_fma_f64 v[195:196], v[42:43], s[20:21], v[193:194]
	v_add_f64_e32 v[32:33], v[32:33], v[38:39]
	v_mul_f64_e32 v[38:39], s[22:23], v[107:108]
	v_add_f64_e32 v[36:37], v[36:37], v[163:164]
	v_add_f64_e32 v[30:31], v[34:35], v[30:31]
	;; [unrolled: 1-line block ×4, first 2 shown]
	v_fma_f64 v[34:35], v[70:71], s[6:7], v[38:39]
	v_mul_f64_e32 v[153:154], s[34:35], v[103:104]
	v_fma_f64 v[38:39], v[70:71], s[52:53], v[38:39]
	v_add_f64_e32 v[36:37], v[151:152], v[36:37]
	s_delay_alu instid0(VALU_DEP_4) | instskip(NEXT) | instid1(VALU_DEP_4)
	v_add_f64_e32 v[34:35], v[34:35], v[161:162]
	v_fma_f64 v[155:156], v[66:67], s[20:21], v[153:154]
	s_delay_alu instid0(VALU_DEP_4) | instskip(SKIP_1) | instid1(VALU_DEP_3)
	v_add_f64_e32 v[38:39], v[38:39], v[165:166]
	v_fma_f64 v[151:152], v[66:67], s[44:45], v[153:154]
	v_add_f64_e32 v[34:35], v[155:156], v[34:35]
	v_mul_f64_e32 v[155:156], s[16:17], v[101:102]
	s_delay_alu instid0(VALU_DEP_3) | instskip(NEXT) | instid1(VALU_DEP_2)
	v_add_f64_e32 v[38:39], v[151:152], v[38:39]
	v_fma_f64 v[157:158], v[56:57], s[30:31], v[155:156]
	v_fma_f64 v[151:152], v[56:57], s[30:31], -v[155:156]
	v_mul_f64_e32 v[155:156], s[48:49], v[109:110]
	s_delay_alu instid0(VALU_DEP_3) | instskip(SKIP_1) | instid1(VALU_DEP_4)
	v_add_f64_e32 v[32:33], v[157:158], v[32:33]
	v_mul_f64_e32 v[157:158], s[30:31], v[99:100]
	v_add_f64_e32 v[36:37], v[151:152], v[36:37]
	s_delay_alu instid0(VALU_DEP_2) | instskip(SKIP_2) | instid1(VALU_DEP_3)
	v_fma_f64 v[159:160], v[58:59], s[40:41], v[157:158]
	v_fma_f64 v[151:152], v[58:59], s[16:17], v[157:158]
	v_mul_f64_e32 v[157:158], s[26:27], v[107:108]
	v_add_f64_e32 v[34:35], v[159:160], v[34:35]
	v_mul_f64_e32 v[159:160], s[2:3], v[97:98]
	s_delay_alu instid0(VALU_DEP_4) | instskip(NEXT) | instid1(VALU_DEP_2)
	v_add_f64_e32 v[38:39], v[151:152], v[38:39]
	v_fma_f64 v[161:162], v[52:53], s[18:19], v[159:160]
	v_fma_f64 v[151:152], v[52:53], s[18:19], -v[159:160]
	v_mul_f64_e32 v[159:160], s[46:47], v[105:106]
	s_delay_alu instid0(VALU_DEP_3) | instskip(SKIP_1) | instid1(VALU_DEP_4)
	v_add_f64_e32 v[32:33], v[161:162], v[32:33]
	v_mul_f64_e32 v[161:162], s[18:19], v[95:96]
	v_add_f64_e32 v[36:37], v[151:152], v[36:37]
	s_delay_alu instid0(VALU_DEP_2) | instskip(SKIP_3) | instid1(VALU_DEP_4)
	v_fma_f64 v[183:184], v[54:55], s[54:55], v[161:162]
	v_fma_f64 v[151:152], v[54:55], s[2:3], v[161:162]
	;; [unrolled: 1-line block ×3, first 2 shown]
	v_fma_f64 v[159:160], v[64:65], s[36:37], -v[159:160]
	v_add_f64_e32 v[34:35], v[183:184], v[34:35]
	v_mul_f64_e32 v[183:184], s[38:39], v[93:94]
	v_add_f64_e32 v[38:39], v[151:152], v[38:39]
	s_delay_alu instid0(VALU_DEP_2) | instskip(SKIP_1) | instid1(VALU_DEP_2)
	v_fma_f64 v[185:186], v[48:49], s[28:29], v[183:184]
	v_fma_f64 v[151:152], v[48:49], s[28:29], -v[183:184]
	v_add_f64_e32 v[32:33], v[185:186], v[32:33]
	v_mul_f64_e32 v[185:186], s[28:29], v[91:92]
	s_delay_alu instid0(VALU_DEP_3) | instskip(NEXT) | instid1(VALU_DEP_2)
	v_add_f64_e32 v[36:37], v[151:152], v[36:37]
	v_fma_f64 v[187:188], v[50:51], s[14:15], v[185:186]
	v_fma_f64 v[151:152], v[50:51], s[38:39], v[185:186]
	s_delay_alu instid0(VALU_DEP_2) | instskip(SKIP_1) | instid1(VALU_DEP_3)
	v_add_f64_e32 v[34:35], v[187:188], v[34:35]
	v_mul_f64_e32 v[187:188], s[46:47], v[89:90]
	v_add_f64_e32 v[38:39], v[151:152], v[38:39]
	s_delay_alu instid0(VALU_DEP_2) | instskip(SKIP_1) | instid1(VALU_DEP_2)
	v_fma_f64 v[189:190], v[44:45], s[36:37], v[187:188]
	v_fma_f64 v[151:152], v[44:45], s[36:37], -v[187:188]
	v_add_f64_e32 v[32:33], v[189:190], v[32:33]
	v_mul_f64_e32 v[189:190], s[36:37], v[87:88]
	s_delay_alu instid0(VALU_DEP_3) | instskip(NEXT) | instid1(VALU_DEP_2)
	v_add_f64_e32 v[36:37], v[151:152], v[36:37]
	v_fma_f64 v[191:192], v[46:47], s[42:43], v[189:190]
	v_fma_f64 v[151:152], v[46:47], s[46:47], v[189:190]
	s_delay_alu instid0(VALU_DEP_2) | instskip(SKIP_1) | instid1(VALU_DEP_3)
	v_add_f64_e32 v[34:35], v[191:192], v[34:35]
	v_mul_f64_e32 v[191:192], s[10:11], v[62:63]
	v_add_f64_e32 v[38:39], v[151:152], v[38:39]
	s_delay_alu instid0(VALU_DEP_2) | instskip(SKIP_1) | instid1(VALU_DEP_2)
	v_fma_f64 v[193:194], v[40:41], s[24:25], v[191:192]
	v_fma_f64 v[151:152], v[40:41], s[24:25], -v[191:192]
	v_add_f64_e32 v[32:33], v[193:194], v[32:33]
	v_mul_f64_e32 v[193:194], s[24:25], v[60:61]
	s_delay_alu instid0(VALU_DEP_3) | instskip(SKIP_2) | instid1(VALU_DEP_4)
	v_add_f64_e32 v[36:37], v[151:152], v[36:37]
	v_fma_f64 v[151:152], v[68:69], s[26:27], v[155:156]
	v_fma_f64 v[155:156], v[68:69], s[26:27], -v[155:156]
	v_fma_f64 v[153:154], v[42:43], s[10:11], v[193:194]
	v_fma_f64 v[195:196], v[42:43], s[50:51], v[193:194]
	s_delay_alu instid0(VALU_DEP_4) | instskip(NEXT) | instid1(VALU_DEP_4)
	v_add_f64_e32 v[151:152], v[151:152], v[167:168]
	v_add_f64_e32 v[155:156], v[155:156], v[171:172]
	s_delay_alu instid0(VALU_DEP_4) | instskip(SKIP_1) | instid1(VALU_DEP_4)
	v_add_f64_e32 v[38:39], v[153:154], v[38:39]
	v_fma_f64 v[153:154], v[70:71], s[12:13], v[157:158]
	v_add_f64_e32 v[151:152], v[161:162], v[151:152]
	v_mul_f64_e32 v[161:162], s[36:37], v[103:104]
	v_fma_f64 v[157:158], v[70:71], s[48:49], v[157:158]
	v_add_f64_e32 v[155:156], v[159:160], v[155:156]
	v_add_f64_e32 v[34:35], v[195:196], v[34:35]
	;; [unrolled: 1-line block ×3, first 2 shown]
	v_fma_f64 v[163:164], v[66:67], s[42:43], v[161:162]
	v_add_f64_e32 v[157:158], v[157:158], v[173:174]
	v_fma_f64 v[159:160], v[66:67], s[46:47], v[161:162]
	s_delay_alu instid0(VALU_DEP_3) | instskip(SKIP_1) | instid1(VALU_DEP_3)
	v_add_f64_e32 v[153:154], v[163:164], v[153:154]
	v_mul_f64_e32 v[163:164], s[6:7], v[101:102]
	v_add_f64_e32 v[157:158], v[159:160], v[157:158]
	s_delay_alu instid0(VALU_DEP_2) | instskip(SKIP_3) | instid1(VALU_DEP_4)
	v_fma_f64 v[165:166], v[56:57], s[22:23], v[163:164]
	v_fma_f64 v[159:160], v[56:57], s[22:23], -v[163:164]
	v_mul_f64_e32 v[163:164], s[40:41], v[109:110]
	v_mul_f64_e32 v[109:110], s[42:43], v[109:110]
	v_add_f64_e32 v[151:152], v[165:166], v[151:152]
	v_mul_f64_e32 v[165:166], s[22:23], v[99:100]
	v_add_f64_e32 v[155:156], v[159:160], v[155:156]
	s_delay_alu instid0(VALU_DEP_2) | instskip(SKIP_3) | instid1(VALU_DEP_4)
	v_fma_f64 v[167:168], v[58:59], s[52:53], v[165:166]
	v_fma_f64 v[159:160], v[58:59], s[6:7], v[165:166]
	v_mul_f64_e32 v[165:166], s[30:31], v[107:108]
	v_mul_f64_e32 v[107:108], s[36:37], v[107:108]
	v_add_f64_e32 v[153:154], v[167:168], v[153:154]
	v_mul_f64_e32 v[167:168], s[38:39], v[97:98]
	v_add_f64_e32 v[157:158], v[159:160], v[157:158]
	s_delay_alu instid0(VALU_DEP_2) | instskip(SKIP_3) | instid1(VALU_DEP_4)
	v_fma_f64 v[169:170], v[52:53], s[28:29], v[167:168]
	v_fma_f64 v[159:160], v[52:53], s[28:29], -v[167:168]
	v_mul_f64_e32 v[167:168], s[14:15], v[105:106]
	v_mul_f64_e32 v[105:106], s[6:7], v[105:106]
	v_add_f64_e32 v[151:152], v[169:170], v[151:152]
	v_mul_f64_e32 v[169:170], s[28:29], v[95:96]
	v_add_f64_e32 v[155:156], v[159:160], v[155:156]
	s_delay_alu instid0(VALU_DEP_2) | instskip(SKIP_3) | instid1(VALU_DEP_4)
	v_fma_f64 v[183:184], v[54:55], s[14:15], v[169:170]
	v_fma_f64 v[159:160], v[54:55], s[38:39], v[169:170]
	;; [unrolled: 1-line block ×3, first 2 shown]
	v_fma_f64 v[167:168], v[64:65], s[28:29], -v[167:168]
	v_add_f64_e32 v[153:154], v[183:184], v[153:154]
	v_mul_f64_e32 v[183:184], s[20:21], v[93:94]
	v_add_f64_e32 v[157:158], v[159:160], v[157:158]
	s_delay_alu instid0(VALU_DEP_2) | instskip(SKIP_1) | instid1(VALU_DEP_2)
	v_fma_f64 v[185:186], v[48:49], s[34:35], v[183:184]
	v_fma_f64 v[159:160], v[48:49], s[34:35], -v[183:184]
	v_add_f64_e32 v[151:152], v[185:186], v[151:152]
	v_mul_f64_e32 v[185:186], s[34:35], v[91:92]
	s_delay_alu instid0(VALU_DEP_3) | instskip(NEXT) | instid1(VALU_DEP_2)
	v_add_f64_e32 v[155:156], v[159:160], v[155:156]
	v_fma_f64 v[187:188], v[50:51], s[44:45], v[185:186]
	v_fma_f64 v[159:160], v[50:51], s[20:21], v[185:186]
	s_delay_alu instid0(VALU_DEP_2) | instskip(SKIP_1) | instid1(VALU_DEP_3)
	v_add_f64_e32 v[153:154], v[187:188], v[153:154]
	v_mul_f64_e32 v[187:188], s[2:3], v[89:90]
	v_add_f64_e32 v[157:158], v[159:160], v[157:158]
	s_delay_alu instid0(VALU_DEP_2) | instskip(SKIP_1) | instid1(VALU_DEP_2)
	v_fma_f64 v[189:190], v[44:45], s[18:19], v[187:188]
	v_fma_f64 v[159:160], v[44:45], s[18:19], -v[187:188]
	v_add_f64_e32 v[151:152], v[189:190], v[151:152]
	v_mul_f64_e32 v[189:190], s[18:19], v[87:88]
	s_delay_alu instid0(VALU_DEP_3) | instskip(NEXT) | instid1(VALU_DEP_2)
	v_add_f64_e32 v[155:156], v[159:160], v[155:156]
	v_fma_f64 v[191:192], v[46:47], s[54:55], v[189:190]
	v_fma_f64 v[159:160], v[46:47], s[2:3], v[189:190]
	s_delay_alu instid0(VALU_DEP_2) | instskip(SKIP_1) | instid1(VALU_DEP_3)
	v_add_f64_e32 v[153:154], v[191:192], v[153:154]
	v_mul_f64_e32 v[191:192], s[40:41], v[62:63]
	v_add_f64_e32 v[157:158], v[159:160], v[157:158]
	s_delay_alu instid0(VALU_DEP_2) | instskip(SKIP_1) | instid1(VALU_DEP_2)
	v_fma_f64 v[193:194], v[40:41], s[30:31], v[191:192]
	v_fma_f64 v[159:160], v[40:41], s[30:31], -v[191:192]
	v_add_f64_e32 v[151:152], v[193:194], v[151:152]
	v_mul_f64_e32 v[193:194], s[30:31], v[60:61]
	s_delay_alu instid0(VALU_DEP_3) | instskip(SKIP_2) | instid1(VALU_DEP_4)
	v_add_f64_e32 v[155:156], v[159:160], v[155:156]
	v_fma_f64 v[159:160], v[68:69], s[30:31], v[163:164]
	v_fma_f64 v[163:164], v[68:69], s[30:31], -v[163:164]
	v_fma_f64 v[161:162], v[42:43], s[40:41], v[193:194]
	v_fma_f64 v[195:196], v[42:43], s[16:17], v[193:194]
	s_delay_alu instid0(VALU_DEP_4) | instskip(NEXT) | instid1(VALU_DEP_4)
	v_add_f64_e32 v[159:160], v[159:160], v[175:176]
	v_add_f64_e32 v[163:164], v[163:164], v[179:180]
	s_delay_alu instid0(VALU_DEP_4) | instskip(SKIP_1) | instid1(VALU_DEP_4)
	v_add_f64_e32 v[157:158], v[161:162], v[157:158]
	v_fma_f64 v[161:162], v[70:71], s[16:17], v[165:166]
	v_add_f64_e32 v[159:160], v[169:170], v[159:160]
	v_mul_f64_e32 v[169:170], s[28:29], v[103:104]
	v_fma_f64 v[165:166], v[70:71], s[40:41], v[165:166]
	v_add_f64_e32 v[163:164], v[167:168], v[163:164]
	v_mul_f64_e32 v[103:104], s[22:23], v[103:104]
	v_add_f64_e32 v[153:154], v[195:196], v[153:154]
	v_add_f64_e32 v[161:162], v[161:162], v[177:178]
	v_fma_f64 v[171:172], v[66:67], s[38:39], v[169:170]
	v_add_f64_e32 v[165:166], v[165:166], v[181:182]
	v_fma_f64 v[167:168], v[66:67], s[14:15], v[169:170]
	s_delay_alu instid0(VALU_DEP_3) | instskip(SKIP_1) | instid1(VALU_DEP_3)
	v_add_f64_e32 v[161:162], v[171:172], v[161:162]
	v_mul_f64_e32 v[171:172], s[50:51], v[101:102]
	v_add_f64_e32 v[165:166], v[167:168], v[165:166]
	v_mul_f64_e32 v[101:102], s[44:45], v[101:102]
	s_delay_alu instid0(VALU_DEP_3) | instskip(SKIP_1) | instid1(VALU_DEP_2)
	v_fma_f64 v[173:174], v[56:57], s[24:25], v[171:172]
	v_fma_f64 v[167:168], v[56:57], s[24:25], -v[171:172]
	v_add_f64_e32 v[159:160], v[173:174], v[159:160]
	v_mul_f64_e32 v[173:174], s[24:25], v[99:100]
	s_delay_alu instid0(VALU_DEP_3) | instskip(SKIP_1) | instid1(VALU_DEP_3)
	v_add_f64_e32 v[163:164], v[167:168], v[163:164]
	v_mul_f64_e32 v[99:100], s[34:35], v[99:100]
	v_fma_f64 v[175:176], v[58:59], s[10:11], v[173:174]
	v_fma_f64 v[167:168], v[58:59], s[50:51], v[173:174]
	s_delay_alu instid0(VALU_DEP_2) | instskip(SKIP_1) | instid1(VALU_DEP_3)
	v_add_f64_e32 v[161:162], v[175:176], v[161:162]
	v_mul_f64_e32 v[175:176], s[46:47], v[97:98]
	v_add_f64_e32 v[165:166], v[167:168], v[165:166]
	v_mul_f64_e32 v[97:98], s[10:11], v[97:98]
	s_delay_alu instid0(VALU_DEP_3) | instskip(SKIP_1) | instid1(VALU_DEP_2)
	v_fma_f64 v[177:178], v[52:53], s[36:37], v[175:176]
	v_fma_f64 v[167:168], v[52:53], s[36:37], -v[175:176]
	v_add_f64_e32 v[159:160], v[177:178], v[159:160]
	v_mul_f64_e32 v[177:178], s[36:37], v[95:96]
	s_delay_alu instid0(VALU_DEP_3) | instskip(SKIP_1) | instid1(VALU_DEP_3)
	v_add_f64_e32 v[163:164], v[167:168], v[163:164]
	v_mul_f64_e32 v[95:96], s[24:25], v[95:96]
	v_fma_f64 v[183:184], v[54:55], s[42:43], v[177:178]
	v_fma_f64 v[167:168], v[54:55], s[46:47], v[177:178]
	s_delay_alu instid0(VALU_DEP_2) | instskip(SKIP_1) | instid1(VALU_DEP_3)
	;; [unrolled: 15-line block ×4, first 2 shown]
	v_add_f64_e32 v[161:162], v[191:192], v[161:162]
	v_mul_f64_e32 v[191:192], s[12:13], v[62:63]
	v_add_f64_e32 v[165:166], v[167:168], v[165:166]
	s_delay_alu instid0(VALU_DEP_2) | instskip(SKIP_1) | instid1(VALU_DEP_2)
	v_fma_f64 v[167:168], v[40:41], s[26:27], -v[191:192]
	v_fma_f64 v[193:194], v[40:41], s[26:27], v[191:192]
	v_add_f64_e32 v[163:164], v[167:168], v[163:164]
	v_fma_f64 v[167:168], v[68:69], s[36:37], v[109:110]
	v_fma_f64 v[109:110], v[68:69], s[36:37], -v[109:110]
	v_fma_f64 v[68:69], v[68:69], s[34:35], -v[115:116]
	v_add_f64_e32 v[159:160], v[193:194], v[159:160]
	v_mul_f64_e32 v[193:194], s[26:27], v[60:61]
	v_add_f64_e32 v[149:150], v[167:168], v[149:150]
	v_fma_f64 v[167:168], v[70:71], s[46:47], v[107:108]
	v_fma_f64 v[107:108], v[70:71], s[42:43], v[107:108]
	;; [unrolled: 1-line block ×3, first 2 shown]
	v_add_f64_e32 v[109:110], v[109:110], v[145:146]
	v_add_f64_e32 v[68:69], v[68:69], v[111:112]
	v_fma_f64 v[169:170], v[42:43], s[12:13], v[193:194]
	v_fma_f64 v[195:196], v[42:43], s[48:49], v[193:194]
	v_add_f64_e32 v[147:148], v[167:168], v[147:148]
	v_fma_f64 v[167:168], v[64:65], s[22:23], v[105:106]
	v_add_f64_e32 v[107:108], v[107:108], v[143:144]
	v_fma_f64 v[105:106], v[64:65], s[22:23], -v[105:106]
	v_add_f64_e32 v[70:71], v[70:71], v[113:114]
	v_fma_f64 v[64:65], v[64:65], s[30:31], -v[119:120]
	v_add_f64_e32 v[165:166], v[169:170], v[165:166]
	v_mul_f64_e32 v[169:170], s[28:29], v[60:61]
	v_add_f64_e32 v[161:162], v[195:196], v[161:162]
	v_add_f64_e32 v[149:150], v[167:168], v[149:150]
	v_fma_f64 v[167:168], v[66:67], s[52:53], v[103:104]
	v_fma_f64 v[103:104], v[66:67], s[6:7], v[103:104]
	v_fma_f64 v[66:67], v[66:67], s[16:17], v[121:122]
	v_add_f64_e32 v[105:106], v[105:106], v[109:110]
	v_add_f64_e32 v[64:65], v[64:65], v[68:69]
	v_add_f64_e32 v[147:148], v[167:168], v[147:148]
	v_fma_f64 v[167:168], v[56:57], s[34:35], v[101:102]
	v_add_f64_e32 v[103:104], v[103:104], v[107:108]
	v_fma_f64 v[101:102], v[56:57], s[34:35], -v[101:102]
	v_add_f64_e32 v[66:67], v[66:67], v[70:71]
	v_fma_f64 v[56:57], v[56:57], s[28:29], -v[123:124]
	v_add_f64_e32 v[149:150], v[167:168], v[149:150]
	v_fma_f64 v[167:168], v[58:59], s[20:21], v[99:100]
	v_fma_f64 v[99:100], v[58:59], s[44:45], v[99:100]
	v_fma_f64 v[58:59], v[58:59], s[14:15], v[125:126]
	v_add_f64_e32 v[101:102], v[101:102], v[105:106]
	v_add_f64_e32 v[56:57], v[56:57], v[64:65]
	v_add_f64_e32 v[147:148], v[167:168], v[147:148]
	v_fma_f64 v[167:168], v[52:53], s[24:25], v[97:98]
	v_add_f64_e32 v[99:100], v[99:100], v[103:104]
	v_fma_f64 v[97:98], v[52:53], s[24:25], -v[97:98]
	v_add_f64_e32 v[58:59], v[58:59], v[66:67]
	v_fma_f64 v[52:53], v[52:53], s[26:27], -v[127:128]
	;; [unrolled: 12-line block ×4, first 2 shown]
	v_add_f64_e32 v[149:150], v[167:168], v[149:150]
	v_fma_f64 v[167:168], v[46:47], s[48:49], v[87:88]
	v_fma_f64 v[87:88], v[46:47], s[12:13], v[87:88]
	;; [unrolled: 1-line block ×3, first 2 shown]
	v_add_f64_e32 v[89:90], v[89:90], v[93:94]
	v_fma_f64 v[93:94], v[42:43], s[38:39], v[169:170]
	v_add_f64_e32 v[44:45], v[44:45], v[48:49]
	v_add_f64_e32 v[147:148], v[167:168], v[147:148]
	v_mul_f64_e32 v[167:168], s[38:39], v[62:63]
	v_fma_f64 v[62:63], v[42:43], s[14:15], v[169:170]
	v_add_f64_e32 v[91:92], v[87:88], v[91:92]
	v_add_f64_e32 v[46:47], v[46:47], v[50:51]
	v_fma_f64 v[42:43], v[42:43], s[2:3], v[141:142]
	v_fma_f64 v[60:61], v[40:41], s[28:29], v[167:168]
	v_fma_f64 v[87:88], v[40:41], s[28:29], -v[167:168]
	v_fma_f64 v[40:41], v[40:41], s[18:19], -v[139:140]
	v_add_f64_e32 v[62:63], v[62:63], v[147:148]
	v_add_f64_e32 v[42:43], v[42:43], v[46:47]
	;; [unrolled: 1-line block ×6, first 2 shown]
	v_mad_u32_u24 v44, 0x110, v72, v233
	ds_store_b128 v44, v[12:15]
	ds_store_b128 v44, v[0:3] offset:16
	ds_store_b128 v44, v[4:7] offset:32
	;; [unrolled: 1-line block ×12, first 2 shown]
	v_subrev_nc_u32_e32 v88, 17, v72
	v_mov_b32_e32 v90, 0
	ds_store_b128 v44, v[28:31] offset:208
	ds_store_b128 v44, v[20:23] offset:224
	;; [unrolled: 1-line block ×4, first 2 shown]
	s_wait_alu 0xf1ff
	v_cndmask_b32_e64 v0, v88, v72, s0
	global_wb scope:SCOPE_SE
	s_wait_dscnt 0x0
	s_barrier_signal -1
	s_barrier_wait -1
	global_inv scope:SCOPE_SE
	v_lshlrev_b32_e32 v89, 4, v0
	v_lshl_add_u32 v240, v86, 4, v233
	v_lshl_add_u32 v242, v84, 4, v233
	;; [unrolled: 1-line block ×4, first 2 shown]
	v_lshlrev_b64_e32 v[0:1], 4, v[89:90]
	v_lshl_add_u32 v159, v80, 4, v233
	v_lshl_add_u32 v255, v78, 4, v233
	;; [unrolled: 1-line block ×4, first 2 shown]
	v_add_co_u32 v4, s1, s4, v0
	s_wait_alu 0xf1ff
	v_add_co_ci_u32_e64 v5, s1, s5, v1, s1
	s_clause 0x1
	global_load_b128 v[0:3], v[4:5], off
	global_load_b128 v[6:9], v[4:5], off offset:16
	ds_load_b128 v[10:13], v240
	ds_load_b128 v[14:17], v234 offset:8704
	v_cmp_lt_u32_e64 s1, 16, v72
	s_wait_loadcnt_dscnt 0x101
	v_mul_f64_e32 v[18:19], v[12:13], v[2:3]
	v_mul_f64_e32 v[2:3], v[10:11], v[2:3]
	s_delay_alu instid0(VALU_DEP_2) | instskip(NEXT) | instid1(VALU_DEP_2)
	v_fma_f64 v[22:23], v[10:11], v[0:1], v[18:19]
	v_fma_f64 v[99:100], v[12:13], v[0:1], -v[2:3]
	ds_load_b128 v[10:13], v242
	ds_load_b128 v[18:21], v241
	s_wait_loadcnt_dscnt 0x1
	v_mul_f64_e32 v[0:1], v[12:13], v[8:9]
	v_mul_f64_e32 v[2:3], v[10:11], v[8:9]
	s_delay_alu instid0(VALU_DEP_2) | instskip(NEXT) | instid1(VALU_DEP_2)
	v_fma_f64 v[0:1], v[10:11], v[6:7], v[0:1]
	v_fma_f64 v[2:3], v[12:13], v[6:7], -v[2:3]
	s_clause 0x1
	global_load_b128 v[6:9], v[4:5], off offset:32
	global_load_b128 v[10:13], v[4:5], off offset:48
	s_wait_loadcnt_dscnt 0x100
	v_mul_f64_e32 v[24:25], v[20:21], v[8:9]
	v_mul_f64_e32 v[8:9], v[18:19], v[8:9]
	s_delay_alu instid0(VALU_DEP_2) | instskip(NEXT) | instid1(VALU_DEP_2)
	v_fma_f64 v[24:25], v[18:19], v[6:7], v[24:25]
	v_fma_f64 v[26:27], v[20:21], v[6:7], -v[8:9]
	ds_load_b128 v[6:9], v239
	ds_load_b128 v[18:21], v159
	s_wait_loadcnt_dscnt 0x1
	v_mul_f64_e32 v[28:29], v[8:9], v[12:13]
	s_delay_alu instid0(VALU_DEP_1) | instskip(SKIP_1) | instid1(VALU_DEP_1)
	v_fma_f64 v[28:29], v[6:7], v[10:11], v[28:29]
	v_mul_f64_e32 v[6:7], v[6:7], v[12:13]
	v_fma_f64 v[30:31], v[8:9], v[10:11], -v[6:7]
	s_clause 0x1
	global_load_b128 v[6:9], v[4:5], off offset:64
	global_load_b128 v[10:13], v[4:5], off offset:80
	s_wait_loadcnt_dscnt 0x100
	v_mul_f64_e32 v[32:33], v[20:21], v[8:9]
	v_mul_f64_e32 v[8:9], v[18:19], v[8:9]
	s_delay_alu instid0(VALU_DEP_2) | instskip(NEXT) | instid1(VALU_DEP_2)
	v_fma_f64 v[32:33], v[18:19], v[6:7], v[32:33]
	v_fma_f64 v[34:35], v[20:21], v[6:7], -v[8:9]
	ds_load_b128 v[6:9], v255
	ds_load_b128 v[18:21], v232
	s_wait_loadcnt_dscnt 0x1
	v_mul_f64_e32 v[36:37], v[8:9], v[12:13]
	s_delay_alu instid0(VALU_DEP_1) | instskip(SKIP_1) | instid1(VALU_DEP_1)
	v_fma_f64 v[36:37], v[6:7], v[10:11], v[36:37]
	v_mul_f64_e32 v[6:7], v[6:7], v[12:13]
	v_fma_f64 v[38:39], v[8:9], v[10:11], -v[6:7]
	s_clause 0x1
	global_load_b128 v[6:9], v[4:5], off offset:96
	global_load_b128 v[10:13], v[4:5], off offset:112
	s_wait_loadcnt_dscnt 0x100
	v_mul_f64_e32 v[40:41], v[20:21], v[8:9]
	v_mul_f64_e32 v[8:9], v[18:19], v[8:9]
	s_delay_alu instid0(VALU_DEP_2) | instskip(NEXT) | instid1(VALU_DEP_2)
	v_fma_f64 v[40:41], v[18:19], v[6:7], v[40:41]
	v_fma_f64 v[42:43], v[20:21], v[6:7], -v[8:9]
	ds_load_b128 v[6:9], v160
	s_wait_loadcnt_dscnt 0x0
	v_mul_f64_e32 v[18:19], v[8:9], v[12:13]
	s_delay_alu instid0(VALU_DEP_1) | instskip(SKIP_1) | instid1(VALU_DEP_1)
	v_fma_f64 v[44:45], v[6:7], v[10:11], v[18:19]
	v_mul_f64_e32 v[6:7], v[6:7], v[12:13]
	v_fma_f64 v[46:47], v[8:9], v[10:11], -v[6:7]
	s_clause 0x1
	global_load_b128 v[6:9], v[4:5], off offset:128
	global_load_b128 v[10:13], v[4:5], off offset:144
	ds_load_b128 v[18:21], v234 offset:4896
	ds_load_b128 v[107:110], v231
	s_wait_loadcnt_dscnt 0x101
	v_mul_f64_e32 v[48:49], v[20:21], v[8:9]
	v_mul_f64_e32 v[8:9], v[18:19], v[8:9]
	s_delay_alu instid0(VALU_DEP_2) | instskip(NEXT) | instid1(VALU_DEP_2)
	v_fma_f64 v[48:49], v[18:19], v[6:7], v[48:49]
	v_fma_f64 v[50:51], v[20:21], v[6:7], -v[8:9]
	ds_load_b128 v[6:9], v234 offset:5440
	ds_load_b128 v[18:21], v234 offset:5984
	s_wait_loadcnt_dscnt 0x1
	v_mul_f64_e32 v[52:53], v[8:9], v[12:13]
	v_add_f64_e64 v[229:230], v[46:47], -v[50:51]
	v_add_f64_e32 v[227:228], v[46:47], v[50:51]
	s_delay_alu instid0(VALU_DEP_3) | instskip(SKIP_1) | instid1(VALU_DEP_4)
	v_fma_f64 v[52:53], v[6:7], v[10:11], v[52:53]
	v_mul_f64_e32 v[6:7], v[6:7], v[12:13]
	v_mul_f64_e32 v[217:218], s[2:3], v[229:230]
	s_delay_alu instid0(VALU_DEP_4)
	v_mul_f64_e32 v[221:222], s[18:19], v[227:228]
	v_mul_f64_e32 v[235:236], s[42:43], v[229:230]
	;; [unrolled: 1-line block ×3, first 2 shown]
	v_fma_f64 v[54:55], v[8:9], v[10:11], -v[6:7]
	s_clause 0x1
	global_load_b128 v[6:9], v[4:5], off offset:160
	global_load_b128 v[10:13], v[4:5], off offset:176
	v_add_f64_e64 v[223:224], v[42:43], -v[54:55]
	v_add_f64_e32 v[225:226], v[42:43], v[54:55]
	s_delay_alu instid0(VALU_DEP_2) | instskip(NEXT) | instid1(VALU_DEP_2)
	v_mul_f64_e32 v[205:206], s[6:7], v[223:224]
	v_mul_f64_e32 v[209:210], s[22:23], v[225:226]
	s_wait_loadcnt_dscnt 0x100
	v_mul_f64_e32 v[56:57], v[20:21], v[8:9]
	v_mul_f64_e32 v[8:9], v[18:19], v[8:9]
	s_delay_alu instid0(VALU_DEP_2) | instskip(NEXT) | instid1(VALU_DEP_2)
	v_fma_f64 v[56:57], v[18:19], v[6:7], v[56:57]
	v_fma_f64 v[58:59], v[20:21], v[6:7], -v[8:9]
	ds_load_b128 v[6:9], v234 offset:6528
	ds_load_b128 v[18:21], v234 offset:7072
	s_wait_loadcnt_dscnt 0x1
	v_mul_f64_e32 v[60:61], v[8:9], v[12:13]
	v_add_f64_e64 v[211:212], v[38:39], -v[58:59]
	v_add_f64_e32 v[213:214], v[38:39], v[58:59]
	s_delay_alu instid0(VALU_DEP_3) | instskip(SKIP_1) | instid1(VALU_DEP_4)
	v_fma_f64 v[60:61], v[6:7], v[10:11], v[60:61]
	v_mul_f64_e32 v[6:7], v[6:7], v[12:13]
	v_mul_f64_e32 v[185:186], s[10:11], v[211:212]
	s_delay_alu instid0(VALU_DEP_4) | instskip(NEXT) | instid1(VALU_DEP_3)
	v_mul_f64_e32 v[189:190], s[24:25], v[213:214]
	v_fma_f64 v[62:63], v[8:9], v[10:11], -v[6:7]
	s_clause 0x1
	global_load_b128 v[6:9], v[4:5], off offset:192
	global_load_b128 v[10:13], v[4:5], off offset:208
	v_add_f64_e64 v[191:192], v[34:35], -v[62:63]
	v_add_f64_e32 v[193:194], v[34:35], v[62:63]
	s_wait_loadcnt_dscnt 0x100
	v_mul_f64_e32 v[64:65], v[20:21], v[8:9]
	v_mul_f64_e32 v[8:9], v[18:19], v[8:9]
	s_delay_alu instid0(VALU_DEP_2) | instskip(NEXT) | instid1(VALU_DEP_2)
	v_fma_f64 v[64:65], v[18:19], v[6:7], v[64:65]
	v_fma_f64 v[66:67], v[20:21], v[6:7], -v[8:9]
	ds_load_b128 v[6:9], v234 offset:7616
	ds_load_b128 v[18:21], v234 offset:8160
	s_wait_loadcnt_dscnt 0x1
	v_mul_f64_e32 v[68:69], v[8:9], v[12:13]
	s_delay_alu instid0(VALU_DEP_1) | instskip(SKIP_1) | instid1(VALU_DEP_1)
	v_fma_f64 v[68:69], v[6:7], v[10:11], v[68:69]
	v_mul_f64_e32 v[6:7], v[6:7], v[12:13]
	v_fma_f64 v[70:71], v[8:9], v[10:11], -v[6:7]
	s_clause 0x1
	global_load_b128 v[6:9], v[4:5], off offset:224
	global_load_b128 v[10:13], v[4:5], off offset:240
	s_wait_loadcnt_dscnt 0x100
	v_mul_f64_e32 v[4:5], v[20:21], v[8:9]
	s_delay_alu instid0(VALU_DEP_1) | instskip(SKIP_1) | instid1(VALU_DEP_1)
	v_fma_f64 v[91:92], v[18:19], v[6:7], v[4:5]
	v_mul_f64_e32 v[4:5], v[18:19], v[8:9]
	v_fma_f64 v[93:94], v[20:21], v[6:7], -v[4:5]
	s_wait_loadcnt 0x0
	v_mul_f64_e32 v[4:5], v[14:15], v[12:13]
	s_delay_alu instid0(VALU_DEP_1) | instskip(SKIP_1) | instid1(VALU_DEP_1)
	v_fma_f64 v[95:96], v[16:17], v[10:11], -v[4:5]
	v_mul_f64_e32 v[4:5], v[16:17], v[12:13]
	v_fma_f64 v[97:98], v[14:15], v[10:11], v[4:5]
	s_delay_alu instid0(VALU_DEP_3) | instskip(NEXT) | instid1(VALU_DEP_2)
	v_add_f64_e64 v[4:5], v[99:100], -v[95:96]
	v_add_f64_e32 v[20:21], v[22:23], v[97:98]
	s_delay_alu instid0(VALU_DEP_2)
	v_mul_f64_e32 v[10:11], s[16:17], v[4:5]
	v_mul_f64_e32 v[6:7], s[46:47], v[4:5]
	;; [unrolled: 1-line block ×8, first 2 shown]
	v_add_f64_e64 v[135:136], v[22:23], -v[97:98]
	v_fma_f64 v[113:114], v[20:21], s[30:31], v[10:11]
	v_fma_f64 v[115:116], v[20:21], s[30:31], -v[10:11]
	v_add_f64_e32 v[10:11], v[99:100], v[95:96]
	v_fma_f64 v[101:102], v[20:21], s[36:37], v[6:7]
	v_fma_f64 v[6:7], v[20:21], s[36:37], -v[6:7]
	v_fma_f64 v[111:112], v[20:21], s[34:35], v[8:9]
	v_fma_f64 v[8:9], v[20:21], s[34:35], -v[8:9]
	;; [unrolled: 2-line block ×7, first 2 shown]
	v_mul_f64_e32 v[12:13], s[36:37], v[10:11]
	v_mul_f64_e32 v[14:15], s[34:35], v[10:11]
	;; [unrolled: 1-line block ×8, first 2 shown]
	v_add_f64_e32 v[6:7], v[107:108], v[6:7]
	v_add_f64_e32 v[171:172], v[107:108], v[101:102]
	;; [unrolled: 1-line block ×10, first 2 shown]
	v_fma_f64 v[137:138], v[135:136], s[42:43], v[12:13]
	v_fma_f64 v[12:13], v[135:136], s[46:47], v[12:13]
	;; [unrolled: 1-line block ×9, first 2 shown]
	v_add_f64_e32 v[10:11], v[107:108], v[22:23]
	v_fma_f64 v[147:148], v[135:136], s[14:15], v[18:19]
	v_fma_f64 v[149:150], v[135:136], s[48:49], v[20:21]
	;; [unrolled: 1-line block ×7, first 2 shown]
	s_clause 0x1
	scratch_store_b64 off, v[4:5], off offset:52
	scratch_store_b64 off, v[6:7], off offset:12
	v_add_f64_e32 v[14:15], v[107:108], v[111:112]
	v_add_f64_e32 v[22:23], v[107:108], v[113:114]
	;; [unrolled: 1-line block ×3, first 2 shown]
	v_add_f64_e64 v[111:112], v[0:1], -v[91:92]
	v_add_f64_e32 v[173:174], v[109:110], v[137:138]
	v_add_f64_e32 v[137:138], v[107:108], v[131:132]
	v_add_f64_e64 v[131:132], v[2:3], -v[93:94]
	v_add_f64_e32 v[6:7], v[109:110], v[12:13]
	v_add_f64_e32 v[12:13], v[109:110], v[139:140]
	;; [unrolled: 1-line block ×6, first 2 shown]
	scratch_store_b64 off, v[10:11], off offset:28 ; 8-byte Folded Spill
	v_add_f64_e32 v[10:11], v[109:110], v[99:100]
	v_add_f64_e32 v[195:196], v[109:110], v[147:148]
	;; [unrolled: 1-line block ×11, first 2 shown]
	v_add_f64_e64 v[151:152], v[26:27], -v[70:71]
	v_add_f64_e32 v[133:134], v[2:3], v[93:94]
	v_add_f64_e32 v[153:154], v[26:27], v[70:71]
	v_mul_f64_e32 v[163:164], s[12:13], v[191:192]
	v_mul_f64_e32 v[169:170], s[26:27], v[193:194]
	s_clause 0x2
	scratch_store_b64 off, v[6:7], off offset:20
	scratch_store_b64 off, v[4:5], off offset:44
	;; [unrolled: 1-line block ×3, first 2 shown]
	v_add_f64_e32 v[10:11], v[107:108], v[8:9]
	v_add_f64_e32 v[8:9], v[109:110], v[141:142]
	v_add_f64_e32 v[107:108], v[0:1], v[91:92]
	v_mul_f64_e32 v[109:110], s[20:21], v[131:132]
	v_mul_f64_e32 v[121:122], s[16:17], v[151:152]
	;; [unrolled: 1-line block ×4, first 2 shown]
	s_delay_alu instid0(VALU_DEP_4) | instskip(NEXT) | instid1(VALU_DEP_4)
	v_fma_f64 v[4:5], v[107:108], s[34:35], v[109:110]
	v_fma_f64 v[123:124], v[119:120], s[30:31], v[121:122]
	s_delay_alu instid0(VALU_DEP_4) | instskip(NEXT) | instid1(VALU_DEP_3)
	v_fma_f64 v[6:7], v[111:112], s[44:45], v[113:114]
	v_add_f64_e32 v[4:5], v[4:5], v[171:172]
	v_add_f64_e64 v[171:172], v[30:31], -v[66:67]
	s_delay_alu instid0(VALU_DEP_3) | instskip(SKIP_1) | instid1(VALU_DEP_4)
	v_add_f64_e32 v[6:7], v[6:7], v[173:174]
	v_add_f64_e32 v[173:174], v[30:31], v[66:67]
	;; [unrolled: 1-line block ×3, first 2 shown]
	v_add_f64_e64 v[123:124], v[24:25], -v[68:69]
	v_mul_f64_e32 v[141:142], s[14:15], v[171:172]
	s_delay_alu instid0(VALU_DEP_4) | instskip(NEXT) | instid1(VALU_DEP_3)
	v_mul_f64_e32 v[145:146], s[28:29], v[173:174]
	v_fma_f64 v[139:140], v[123:124], s[40:41], v[125:126]
	s_delay_alu instid0(VALU_DEP_1) | instskip(SKIP_1) | instid1(VALU_DEP_1)
	v_add_f64_e32 v[6:7], v[139:140], v[6:7]
	v_add_f64_e32 v[139:140], v[28:29], v[64:65]
	v_fma_f64 v[143:144], v[139:140], s[28:29], v[141:142]
	s_delay_alu instid0(VALU_DEP_1) | instskip(SKIP_1) | instid1(VALU_DEP_1)
	v_add_f64_e32 v[4:5], v[143:144], v[4:5]
	v_add_f64_e64 v[143:144], v[28:29], -v[64:65]
	v_fma_f64 v[161:162], v[143:144], s[38:39], v[145:146]
	s_delay_alu instid0(VALU_DEP_1) | instskip(SKIP_1) | instid1(VALU_DEP_1)
	v_add_f64_e32 v[6:7], v[161:162], v[6:7]
	v_add_f64_e32 v[161:162], v[32:33], v[60:61]
	v_fma_f64 v[167:168], v[161:162], s[26:27], v[163:164]
	s_delay_alu instid0(VALU_DEP_1) | instskip(SKIP_1) | instid1(VALU_DEP_1)
	v_add_f64_e32 v[4:5], v[167:168], v[4:5]
	v_add_f64_e64 v[167:168], v[32:33], -v[60:61]
	;; [unrolled: 8-line block ×5, first 2 shown]
	v_fma_f64 v[243:244], v[219:220], s[54:55], v[221:222]
	s_delay_alu instid0(VALU_DEP_1) | instskip(SKIP_1) | instid1(VALU_DEP_1)
	v_add_f64_e32 v[6:7], v[243:244], v[6:7]
	v_mul_f64_e32 v[243:244], s[14:15], v[131:132]
	v_fma_f64 v[245:246], v[107:108], s[28:29], v[243:244]
	s_delay_alu instid0(VALU_DEP_1) | instskip(SKIP_1) | instid1(VALU_DEP_1)
	v_add_f64_e32 v[14:15], v[245:246], v[14:15]
	v_mul_f64_e32 v[245:246], s[28:29], v[133:134]
	;; [unrolled: 4-line block ×7, first 2 shown]
	v_fma_f64 v[75:76], v[161:162], s[22:23], v[73:74]
	v_fma_f64 v[73:74], v[161:162], s[22:23], -v[73:74]
	s_delay_alu instid0(VALU_DEP_2) | instskip(SKIP_1) | instid1(VALU_DEP_1)
	v_add_f64_e32 v[14:15], v[75:76], v[14:15]
	v_mul_f64_e32 v[75:76], s[22:23], v[193:194]
	v_fma_f64 v[99:100], v[167:168], s[6:7], v[75:76]
	s_delay_alu instid0(VALU_DEP_1) | instskip(SKIP_1) | instid1(VALU_DEP_1)
	v_add_f64_e32 v[12:13], v[99:100], v[12:13]
	v_mul_f64_e32 v[99:100], s[48:49], v[211:212]
	v_fma_f64 v[101:102], v[183:184], s[26:27], v[99:100]
	s_delay_alu instid0(VALU_DEP_1) | instskip(SKIP_1) | instid1(VALU_DEP_1)
	;; [unrolled: 4-line block ×5, first 2 shown]
	v_add_f64_e32 v[115:116], v[115:116], v[12:13]
	v_fma_f64 v[12:13], v[215:216], s[36:37], v[235:236]
	v_add_f64_e32 v[12:13], v[12:13], v[14:15]
	v_fma_f64 v[14:15], v[219:220], s[46:47], v[237:238]
	s_delay_alu instid0(VALU_DEP_1) | instskip(SKIP_1) | instid1(VALU_DEP_1)
	v_add_f64_e32 v[14:15], v[14:15], v[115:116]
	v_fma_f64 v[115:116], v[107:108], s[28:29], -v[243:244]
	v_add_f64_e32 v[10:11], v[115:116], v[10:11]
	v_fma_f64 v[115:116], v[111:112], s[14:15], v[245:246]
	s_delay_alu instid0(VALU_DEP_1) | instskip(SKIP_1) | instid1(VALU_DEP_1)
	v_add_f64_e32 v[8:9], v[115:116], v[8:9]
	v_fma_f64 v[115:116], v[119:120], s[24:25], -v[247:248]
	v_add_f64_e32 v[10:11], v[115:116], v[10:11]
	v_fma_f64 v[115:116], v[123:124], s[10:11], v[249:250]
	s_delay_alu instid0(VALU_DEP_1) | instskip(SKIP_2) | instid1(VALU_DEP_2)
	v_add_f64_e32 v[8:9], v[115:116], v[8:9]
	v_fma_f64 v[115:116], v[139:140], s[18:19], -v[251:252]
	v_mul_f64_e32 v[251:252], s[6:7], v[229:230]
	v_add_f64_e32 v[10:11], v[115:116], v[10:11]
	v_fma_f64 v[115:116], v[143:144], s[2:3], v[253:254]
	v_mul_f64_e32 v[253:254], s[22:23], v[227:228]
	s_delay_alu instid0(VALU_DEP_3) | instskip(NEXT) | instid1(VALU_DEP_3)
	v_add_f64_e32 v[10:11], v[73:74], v[10:11]
	v_add_f64_e32 v[8:9], v[115:116], v[8:9]
	v_fma_f64 v[73:74], v[167:168], s[52:53], v[75:76]
	v_fma_f64 v[75:76], v[219:220], s[42:43], v[237:238]
	s_delay_alu instid0(VALU_DEP_2) | instskip(SKIP_1) | instid1(VALU_DEP_1)
	v_add_f64_e32 v[8:9], v[73:74], v[8:9]
	v_fma_f64 v[73:74], v[183:184], s[26:27], -v[99:100]
	v_add_f64_e32 v[10:11], v[73:74], v[10:11]
	v_fma_f64 v[73:74], v[187:188], s[48:49], v[101:102]
	s_delay_alu instid0(VALU_DEP_1) | instskip(SKIP_1) | instid1(VALU_DEP_1)
	v_add_f64_e32 v[8:9], v[73:74], v[8:9]
	v_fma_f64 v[73:74], v[203:204], s[30:31], -v[103:104]
	v_add_f64_e32 v[10:11], v[73:74], v[10:11]
	v_fma_f64 v[73:74], v[207:208], s[40:41], v[105:106]
	s_delay_alu instid0(VALU_DEP_1) | instskip(SKIP_1) | instid1(VALU_DEP_1)
	v_add_f64_e32 v[73:74], v[73:74], v[8:9]
	v_fma_f64 v[8:9], v[215:216], s[36:37], -v[235:236]
	v_add_f64_e32 v[8:9], v[8:9], v[10:11]
	s_delay_alu instid0(VALU_DEP_3) | instskip(SKIP_1) | instid1(VALU_DEP_1)
	v_add_f64_e32 v[10:11], v[75:76], v[73:74]
	v_mul_f64_e32 v[73:74], s[10:11], v[131:132]
	v_fma_f64 v[75:76], v[107:108], s[24:25], v[73:74]
	v_fma_f64 v[73:74], v[107:108], s[24:25], -v[73:74]
	s_delay_alu instid0(VALU_DEP_2) | instskip(SKIP_1) | instid1(VALU_DEP_3)
	v_add_f64_e32 v[22:23], v[75:76], v[22:23]
	v_mul_f64_e32 v[75:76], s[24:25], v[133:134]
	v_add_f64_e32 v[18:19], v[73:74], v[18:19]
	s_delay_alu instid0(VALU_DEP_2) | instskip(SKIP_2) | instid1(VALU_DEP_3)
	v_fma_f64 v[99:100], v[111:112], s[50:51], v[75:76]
	v_fma_f64 v[73:74], v[111:112], s[10:11], v[75:76]
	;; [unrolled: 1-line block ×3, first 2 shown]
	v_add_f64_e32 v[20:21], v[99:100], v[20:21]
	v_mul_f64_e32 v[99:100], s[54:55], v[151:152]
	s_delay_alu instid0(VALU_DEP_4) | instskip(NEXT) | instid1(VALU_DEP_2)
	v_add_f64_e32 v[16:17], v[73:74], v[16:17]
	v_fma_f64 v[101:102], v[119:120], s[18:19], v[99:100]
	v_fma_f64 v[73:74], v[119:120], s[18:19], -v[99:100]
	v_mul_f64_e32 v[99:100], s[18:19], v[133:134]
	s_delay_alu instid0(VALU_DEP_3) | instskip(SKIP_1) | instid1(VALU_DEP_4)
	v_add_f64_e32 v[22:23], v[101:102], v[22:23]
	v_mul_f64_e32 v[101:102], s[18:19], v[153:154]
	v_add_f64_e32 v[18:19], v[73:74], v[18:19]
	s_delay_alu instid0(VALU_DEP_2) | instskip(SKIP_3) | instid1(VALU_DEP_4)
	v_fma_f64 v[103:104], v[123:124], s[2:3], v[101:102]
	v_fma_f64 v[73:74], v[123:124], s[54:55], v[101:102]
	;; [unrolled: 1-line block ×4, first 2 shown]
	v_add_f64_e32 v[20:21], v[103:104], v[20:21]
	v_mul_f64_e32 v[103:104], s[48:49], v[171:172]
	v_add_f64_e32 v[16:17], v[73:74], v[16:17]
	v_add_f64_e32 v[101:102], v[101:102], v[199:200]
	;; [unrolled: 1-line block ×3, first 2 shown]
	s_delay_alu instid0(VALU_DEP_4) | instskip(SKIP_2) | instid1(VALU_DEP_3)
	v_fma_f64 v[105:106], v[139:140], s[26:27], v[103:104]
	v_fma_f64 v[73:74], v[139:140], s[26:27], -v[103:104]
	v_mul_f64_e32 v[103:104], s[48:49], v[151:152]
	v_add_f64_e32 v[22:23], v[105:106], v[22:23]
	v_mul_f64_e32 v[105:106], s[26:27], v[173:174]
	s_delay_alu instid0(VALU_DEP_4) | instskip(NEXT) | instid1(VALU_DEP_2)
	v_add_f64_e32 v[18:19], v[73:74], v[18:19]
	v_fma_f64 v[115:116], v[143:144], s[12:13], v[105:106]
	v_fma_f64 v[73:74], v[143:144], s[48:49], v[105:106]
	;; [unrolled: 1-line block ×3, first 2 shown]
	s_delay_alu instid0(VALU_DEP_3) | instskip(SKIP_1) | instid1(VALU_DEP_4)
	v_add_f64_e32 v[20:21], v[115:116], v[20:21]
	v_mul_f64_e32 v[115:116], s[44:45], v[191:192]
	v_add_f64_e32 v[16:17], v[73:74], v[16:17]
	s_delay_alu instid0(VALU_DEP_2) | instskip(SKIP_1) | instid1(VALU_DEP_2)
	v_fma_f64 v[235:236], v[161:162], s[34:35], v[115:116]
	v_fma_f64 v[73:74], v[161:162], s[34:35], -v[115:116]
	v_add_f64_e32 v[22:23], v[235:236], v[22:23]
	v_mul_f64_e32 v[235:236], s[34:35], v[193:194]
	s_delay_alu instid0(VALU_DEP_3) | instskip(NEXT) | instid1(VALU_DEP_2)
	v_add_f64_e32 v[18:19], v[73:74], v[18:19]
	v_fma_f64 v[237:238], v[167:168], s[20:21], v[235:236]
	v_fma_f64 v[73:74], v[167:168], s[44:45], v[235:236]
	v_mul_f64_e32 v[235:236], s[36:37], v[173:174]
	s_delay_alu instid0(VALU_DEP_3) | instskip(SKIP_1) | instid1(VALU_DEP_4)
	v_add_f64_e32 v[20:21], v[237:238], v[20:21]
	v_mul_f64_e32 v[237:238], s[46:47], v[211:212]
	v_add_f64_e32 v[16:17], v[73:74], v[16:17]
	s_delay_alu instid0(VALU_DEP_2) | instskip(SKIP_2) | instid1(VALU_DEP_3)
	v_fma_f64 v[243:244], v[183:184], s[36:37], v[237:238]
	v_fma_f64 v[73:74], v[183:184], s[36:37], -v[237:238]
	v_mul_f64_e32 v[237:238], s[16:17], v[191:192]
	v_add_f64_e32 v[22:23], v[243:244], v[22:23]
	v_mul_f64_e32 v[243:244], s[36:37], v[213:214]
	s_delay_alu instid0(VALU_DEP_4) | instskip(NEXT) | instid1(VALU_DEP_2)
	v_add_f64_e32 v[18:19], v[73:74], v[18:19]
	v_fma_f64 v[245:246], v[187:188], s[42:43], v[243:244]
	v_fma_f64 v[73:74], v[187:188], s[46:47], v[243:244]
	v_mul_f64_e32 v[243:244], s[30:31], v[193:194]
	s_delay_alu instid0(VALU_DEP_3) | instskip(SKIP_1) | instid1(VALU_DEP_4)
	v_add_f64_e32 v[20:21], v[245:246], v[20:21]
	v_mul_f64_e32 v[245:246], s[14:15], v[223:224]
	v_add_f64_e32 v[16:17], v[73:74], v[16:17]
	s_delay_alu instid0(VALU_DEP_2) | instskip(SKIP_2) | instid1(VALU_DEP_3)
	v_fma_f64 v[247:248], v[203:204], s[28:29], v[245:246]
	v_fma_f64 v[73:74], v[203:204], s[28:29], -v[245:246]
	v_mul_f64_e32 v[245:246], s[6:7], v[211:212]
	v_add_f64_e32 v[22:23], v[247:248], v[22:23]
	v_mul_f64_e32 v[247:248], s[28:29], v[225:226]
	s_delay_alu instid0(VALU_DEP_4) | instskip(NEXT) | instid1(VALU_DEP_2)
	v_add_f64_e32 v[18:19], v[73:74], v[18:19]
	v_fma_f64 v[73:74], v[207:208], s[14:15], v[247:248]
	v_fma_f64 v[249:250], v[207:208], s[38:39], v[247:248]
	v_mul_f64_e32 v[247:248], s[22:23], v[213:214]
	s_delay_alu instid0(VALU_DEP_3) | instskip(SKIP_1) | instid1(VALU_DEP_4)
	v_add_f64_e32 v[73:74], v[73:74], v[16:17]
	v_fma_f64 v[16:17], v[215:216], s[22:23], -v[251:252]
	v_add_f64_e32 v[249:250], v[249:250], v[20:21]
	v_fma_f64 v[20:21], v[215:216], s[22:23], v[251:252]
	v_mul_f64_e32 v[251:252], s[24:25], v[225:226]
	s_delay_alu instid0(VALU_DEP_4)
	v_add_f64_e32 v[16:17], v[16:17], v[18:19]
	v_add_f64_e32 v[18:19], v[75:76], v[73:74]
	v_mul_f64_e32 v[73:74], s[2:3], v[131:132]
	v_add_f64_e32 v[20:21], v[20:21], v[22:23]
	v_fma_f64 v[22:23], v[219:220], s[52:53], v[253:254]
	v_mul_f64_e32 v[253:254], s[44:45], v[229:230]
	s_delay_alu instid0(VALU_DEP_4) | instskip(SKIP_1) | instid1(VALU_DEP_4)
	v_fma_f64 v[75:76], v[107:108], s[18:19], v[73:74]
	v_fma_f64 v[73:74], v[107:108], s[18:19], -v[73:74]
	v_add_f64_e32 v[22:23], v[22:23], v[249:250]
	v_mul_f64_e32 v[249:250], s[50:51], v[223:224]
	s_delay_alu instid0(VALU_DEP_4) | instskip(NEXT) | instid1(VALU_DEP_4)
	v_add_f64_e32 v[75:76], v[75:76], v[201:202]
	v_add_f64_e32 v[73:74], v[73:74], v[197:198]
	s_delay_alu instid0(VALU_DEP_2) | instskip(SKIP_1) | instid1(VALU_DEP_1)
	v_add_f64_e32 v[75:76], v[105:106], v[75:76]
	v_mul_f64_e32 v[105:106], s[26:27], v[153:154]
	v_fma_f64 v[115:116], v[123:124], s[12:13], v[105:106]
	s_delay_alu instid0(VALU_DEP_1) | instskip(SKIP_1) | instid1(VALU_DEP_1)
	v_add_f64_e32 v[101:102], v[115:116], v[101:102]
	v_mul_f64_e32 v[115:116], s[42:43], v[171:172]
	v_fma_f64 v[199:200], v[139:140], s[36:37], v[115:116]
	s_delay_alu instid0(VALU_DEP_1) | instskip(SKIP_1) | instid1(VALU_DEP_1)
	v_add_f64_e32 v[75:76], v[199:200], v[75:76]
	v_fma_f64 v[199:200], v[143:144], s[46:47], v[235:236]
	v_add_f64_e32 v[101:102], v[199:200], v[101:102]
	v_fma_f64 v[199:200], v[161:162], s[30:31], v[237:238]
	s_delay_alu instid0(VALU_DEP_1) | instskip(SKIP_1) | instid1(VALU_DEP_1)
	v_add_f64_e32 v[75:76], v[199:200], v[75:76]
	v_fma_f64 v[199:200], v[167:168], s[40:41], v[243:244]
	v_add_f64_e32 v[101:102], v[199:200], v[101:102]
	v_fma_f64 v[199:200], v[183:184], s[22:23], v[245:246]
	s_delay_alu instid0(VALU_DEP_1) | instskip(SKIP_1) | instid1(VALU_DEP_1)
	v_add_f64_e32 v[75:76], v[199:200], v[75:76]
	v_fma_f64 v[199:200], v[187:188], s[52:53], v[247:248]
	v_add_f64_e32 v[101:102], v[199:200], v[101:102]
	v_fma_f64 v[199:200], v[203:204], s[24:25], v[249:250]
	s_delay_alu instid0(VALU_DEP_1) | instskip(SKIP_1) | instid1(VALU_DEP_1)
	v_add_f64_e32 v[75:76], v[199:200], v[75:76]
	v_fma_f64 v[199:200], v[207:208], s[10:11], v[251:252]
	v_add_f64_e32 v[101:102], v[199:200], v[101:102]
	v_fma_f64 v[199:200], v[215:216], s[34:35], v[253:254]
	s_delay_alu instid0(VALU_DEP_1) | instskip(SKIP_1) | instid1(VALU_DEP_1)
	v_add_f64_e32 v[199:200], v[199:200], v[75:76]
	v_mul_f64_e32 v[75:76], s[34:35], v[227:228]
	v_fma_f64 v[201:202], v[219:220], s[20:21], v[75:76]
	v_fma_f64 v[75:76], v[219:220], s[44:45], v[75:76]
	s_delay_alu instid0(VALU_DEP_2) | instskip(SKIP_2) | instid1(VALU_DEP_2)
	v_add_f64_e32 v[201:202], v[201:202], v[101:102]
	v_fma_f64 v[101:102], v[119:120], s[26:27], -v[103:104]
	v_mul_f64_e32 v[103:104], s[44:45], v[151:152]
	v_add_f64_e32 v[73:74], v[101:102], v[73:74]
	v_fma_f64 v[101:102], v[123:124], s[48:49], v[105:106]
	s_delay_alu instid0(VALU_DEP_3) | instskip(NEXT) | instid1(VALU_DEP_2)
	v_fma_f64 v[105:106], v[119:120], s[34:35], v[103:104]
	v_add_f64_e32 v[99:100], v[101:102], v[99:100]
	v_fma_f64 v[101:102], v[139:140], s[36:37], -v[115:116]
	s_delay_alu instid0(VALU_DEP_1) | instskip(SKIP_2) | instid1(VALU_DEP_2)
	v_add_f64_e32 v[73:74], v[101:102], v[73:74]
	v_fma_f64 v[101:102], v[143:144], s[42:43], v[235:236]
	v_mul_f64_e32 v[235:236], s[30:31], v[173:174]
	v_add_f64_e32 v[99:100], v[101:102], v[99:100]
	v_fma_f64 v[101:102], v[161:162], s[30:31], -v[237:238]
	v_mul_f64_e32 v[237:238], s[2:3], v[191:192]
	s_delay_alu instid0(VALU_DEP_2) | instskip(SKIP_2) | instid1(VALU_DEP_2)
	v_add_f64_e32 v[73:74], v[101:102], v[73:74]
	v_fma_f64 v[101:102], v[167:168], s[16:17], v[243:244]
	v_mul_f64_e32 v[243:244], s[18:19], v[193:194]
	v_add_f64_e32 v[99:100], v[101:102], v[99:100]
	v_fma_f64 v[101:102], v[183:184], s[22:23], -v[245:246]
	v_mul_f64_e32 v[245:246], s[38:39], v[211:212]
	s_delay_alu instid0(VALU_DEP_2) | instskip(SKIP_2) | instid1(VALU_DEP_2)
	;; [unrolled: 7-line block ×3, first 2 shown]
	v_add_f64_e32 v[73:74], v[101:102], v[73:74]
	v_fma_f64 v[101:102], v[207:208], s[50:51], v[251:252]
	v_mul_f64_e32 v[251:252], s[36:37], v[225:226]
	v_add_f64_e32 v[99:100], v[101:102], v[99:100]
	v_fma_f64 v[101:102], v[215:216], s[34:35], -v[253:254]
	v_mul_f64_e32 v[253:254], s[10:11], v[229:230]
	s_delay_alu instid0(VALU_DEP_3) | instskip(NEXT) | instid1(VALU_DEP_3)
	v_add_f64_e32 v[197:198], v[75:76], v[99:100]
	v_add_f64_e32 v[195:196], v[101:102], v[73:74]
	v_mul_f64_e32 v[73:74], s[52:53], v[131:132]
	v_mul_f64_e32 v[99:100], s[22:23], v[133:134]
	s_delay_alu instid0(VALU_DEP_2) | instskip(NEXT) | instid1(VALU_DEP_2)
	v_fma_f64 v[75:76], v[107:108], s[22:23], v[73:74]
	v_fma_f64 v[101:102], v[111:112], s[6:7], v[99:100]
	v_fma_f64 v[73:74], v[107:108], s[22:23], -v[73:74]
	v_fma_f64 v[99:100], v[111:112], s[52:53], v[99:100]
	s_delay_alu instid0(VALU_DEP_4) | instskip(NEXT) | instid1(VALU_DEP_4)
	v_add_f64_e32 v[75:76], v[75:76], v[181:182]
	v_add_f64_e32 v[101:102], v[101:102], v[179:180]
	s_delay_alu instid0(VALU_DEP_4) | instskip(NEXT) | instid1(VALU_DEP_4)
	v_add_f64_e32 v[73:74], v[73:74], v[177:178]
	v_add_f64_e32 v[99:100], v[99:100], v[175:176]
	s_delay_alu instid0(VALU_DEP_4) | instskip(SKIP_1) | instid1(VALU_DEP_1)
	v_add_f64_e32 v[75:76], v[105:106], v[75:76]
	v_mul_f64_e32 v[105:106], s[34:35], v[153:154]
	v_fma_f64 v[115:116], v[123:124], s[20:21], v[105:106]
	s_delay_alu instid0(VALU_DEP_1) | instskip(SKIP_1) | instid1(VALU_DEP_1)
	v_add_f64_e32 v[101:102], v[115:116], v[101:102]
	v_mul_f64_e32 v[115:116], s[16:17], v[171:172]
	v_fma_f64 v[179:180], v[139:140], s[30:31], v[115:116]
	s_delay_alu instid0(VALU_DEP_1) | instskip(SKIP_1) | instid1(VALU_DEP_1)
	v_add_f64_e32 v[75:76], v[179:180], v[75:76]
	v_fma_f64 v[179:180], v[143:144], s[40:41], v[235:236]
	v_add_f64_e32 v[101:102], v[179:180], v[101:102]
	v_fma_f64 v[179:180], v[161:162], s[18:19], v[237:238]
	s_delay_alu instid0(VALU_DEP_1) | instskip(SKIP_1) | instid1(VALU_DEP_1)
	v_add_f64_e32 v[75:76], v[179:180], v[75:76]
	v_fma_f64 v[179:180], v[167:168], s[54:55], v[243:244]
	v_add_f64_e32 v[101:102], v[179:180], v[101:102]
	;; [unrolled: 5-line block ×4, first 2 shown]
	v_fma_f64 v[179:180], v[215:216], s[24:25], v[253:254]
	s_delay_alu instid0(VALU_DEP_1) | instskip(SKIP_1) | instid1(VALU_DEP_1)
	v_add_f64_e32 v[179:180], v[179:180], v[75:76]
	v_mul_f64_e32 v[75:76], s[24:25], v[227:228]
	v_fma_f64 v[181:182], v[219:220], s[50:51], v[75:76]
	v_fma_f64 v[75:76], v[219:220], s[10:11], v[75:76]
	s_delay_alu instid0(VALU_DEP_2) | instskip(SKIP_2) | instid1(VALU_DEP_2)
	v_add_f64_e32 v[181:182], v[181:182], v[101:102]
	v_fma_f64 v[101:102], v[119:120], s[34:35], -v[103:104]
	v_mul_f64_e32 v[103:104], s[46:47], v[151:152]
	v_add_f64_e32 v[73:74], v[101:102], v[73:74]
	v_fma_f64 v[101:102], v[123:124], s[44:45], v[105:106]
	s_delay_alu instid0(VALU_DEP_3) | instskip(NEXT) | instid1(VALU_DEP_2)
	v_fma_f64 v[105:106], v[119:120], s[36:37], v[103:104]
	v_add_f64_e32 v[99:100], v[101:102], v[99:100]
	v_fma_f64 v[101:102], v[139:140], s[30:31], -v[115:116]
	s_delay_alu instid0(VALU_DEP_1) | instskip(SKIP_1) | instid1(VALU_DEP_1)
	v_add_f64_e32 v[73:74], v[101:102], v[73:74]
	v_fma_f64 v[101:102], v[143:144], s[16:17], v[235:236]
	v_add_f64_e32 v[99:100], v[101:102], v[99:100]
	v_fma_f64 v[101:102], v[161:162], s[18:19], -v[237:238]
	s_delay_alu instid0(VALU_DEP_1) | instskip(SKIP_1) | instid1(VALU_DEP_1)
	v_add_f64_e32 v[73:74], v[101:102], v[73:74]
	v_fma_f64 v[101:102], v[167:168], s[2:3], v[243:244]
	v_add_f64_e32 v[99:100], v[101:102], v[99:100]
	v_fma_f64 v[101:102], v[183:184], s[28:29], -v[245:246]
	s_delay_alu instid0(VALU_DEP_1) | instskip(SKIP_2) | instid1(VALU_DEP_2)
	v_add_f64_e32 v[73:74], v[101:102], v[73:74]
	v_fma_f64 v[101:102], v[187:188], s[38:39], v[247:248]
	v_mul_f64_e32 v[247:248], s[34:35], v[213:214]
	v_add_f64_e32 v[99:100], v[101:102], v[99:100]
	v_fma_f64 v[101:102], v[203:204], s[36:37], -v[249:250]
	v_mul_f64_e32 v[249:250], s[2:3], v[223:224]
	s_delay_alu instid0(VALU_DEP_2) | instskip(SKIP_2) | instid1(VALU_DEP_2)
	v_add_f64_e32 v[73:74], v[101:102], v[73:74]
	v_fma_f64 v[101:102], v[207:208], s[46:47], v[251:252]
	v_mul_f64_e32 v[251:252], s[18:19], v[225:226]
	v_add_f64_e32 v[99:100], v[101:102], v[99:100]
	v_fma_f64 v[101:102], v[215:216], s[24:25], -v[253:254]
	v_mul_f64_e32 v[253:254], s[40:41], v[229:230]
	s_delay_alu instid0(VALU_DEP_3) | instskip(NEXT) | instid1(VALU_DEP_3)
	v_add_f64_e32 v[177:178], v[75:76], v[99:100]
	v_add_f64_e32 v[175:176], v[101:102], v[73:74]
	v_mul_f64_e32 v[73:74], s[48:49], v[131:132]
	v_mul_f64_e32 v[99:100], s[26:27], v[133:134]
	s_delay_alu instid0(VALU_DEP_2) | instskip(NEXT) | instid1(VALU_DEP_2)
	v_fma_f64 v[75:76], v[107:108], s[26:27], v[73:74]
	v_fma_f64 v[101:102], v[111:112], s[12:13], v[99:100]
	v_fma_f64 v[73:74], v[107:108], s[26:27], -v[73:74]
	v_fma_f64 v[99:100], v[111:112], s[48:49], v[99:100]
	s_delay_alu instid0(VALU_DEP_4) | instskip(NEXT) | instid1(VALU_DEP_4)
	v_add_f64_e32 v[75:76], v[75:76], v[165:166]
	v_add_f64_e32 v[101:102], v[101:102], v[117:118]
	s_delay_alu instid0(VALU_DEP_4) | instskip(NEXT) | instid1(VALU_DEP_4)
	v_add_f64_e32 v[73:74], v[73:74], v[157:158]
	v_add_f64_e32 v[99:100], v[99:100], v[155:156]
	s_delay_alu instid0(VALU_DEP_4) | instskip(SKIP_1) | instid1(VALU_DEP_1)
	v_add_f64_e32 v[75:76], v[105:106], v[75:76]
	v_mul_f64_e32 v[105:106], s[36:37], v[153:154]
	v_fma_f64 v[115:116], v[123:124], s[42:43], v[105:106]
	s_delay_alu instid0(VALU_DEP_1) | instskip(SKIP_1) | instid1(VALU_DEP_1)
	v_add_f64_e32 v[101:102], v[115:116], v[101:102]
	v_mul_f64_e32 v[115:116], s[6:7], v[171:172]
	v_fma_f64 v[117:118], v[139:140], s[22:23], v[115:116]
	s_delay_alu instid0(VALU_DEP_1) | instskip(SKIP_1) | instid1(VALU_DEP_1)
	;; [unrolled: 4-line block ×6, first 2 shown]
	v_add_f64_e32 v[75:76], v[243:244], v[75:76]
	v_fma_f64 v[243:244], v[187:188], s[44:45], v[247:248]
	v_add_f64_e32 v[101:102], v[243:244], v[101:102]
	v_fma_f64 v[243:244], v[203:204], s[18:19], v[249:250]
	s_delay_alu instid0(VALU_DEP_1) | instskip(SKIP_1) | instid1(VALU_DEP_1)
	v_add_f64_e32 v[75:76], v[243:244], v[75:76]
	v_fma_f64 v[243:244], v[207:208], s[54:55], v[251:252]
	v_add_f64_e32 v[101:102], v[243:244], v[101:102]
	v_fma_f64 v[243:244], v[215:216], s[30:31], v[253:254]
	s_delay_alu instid0(VALU_DEP_1) | instskip(SKIP_1) | instid1(VALU_DEP_1)
	v_add_f64_e32 v[243:244], v[243:244], v[75:76]
	v_mul_f64_e32 v[75:76], s[30:31], v[227:228]
	v_fma_f64 v[245:246], v[219:220], s[16:17], v[75:76]
	v_fma_f64 v[75:76], v[219:220], s[40:41], v[75:76]
	s_delay_alu instid0(VALU_DEP_2) | instskip(SKIP_2) | instid1(VALU_DEP_2)
	v_add_f64_e32 v[245:246], v[245:246], v[101:102]
	v_fma_f64 v[101:102], v[119:120], s[36:37], -v[103:104]
	v_mul_f64_e32 v[103:104], s[14:15], v[151:152]
	v_add_f64_e32 v[73:74], v[101:102], v[73:74]
	v_fma_f64 v[101:102], v[123:124], s[46:47], v[105:106]
	s_delay_alu instid0(VALU_DEP_3) | instskip(NEXT) | instid1(VALU_DEP_2)
	v_fma_f64 v[105:106], v[119:120], s[28:29], v[103:104]
	v_add_f64_e32 v[99:100], v[101:102], v[99:100]
	v_fma_f64 v[101:102], v[139:140], s[22:23], -v[115:116]
	s_delay_alu instid0(VALU_DEP_1) | instskip(SKIP_1) | instid1(VALU_DEP_1)
	v_add_f64_e32 v[73:74], v[101:102], v[73:74]
	v_fma_f64 v[101:102], v[143:144], s[6:7], v[117:118]
	v_add_f64_e32 v[99:100], v[101:102], v[99:100]
	v_fma_f64 v[101:102], v[161:162], s[28:29], -v[165:166]
	v_mul_f64_e32 v[165:166], s[46:47], v[191:192]
	s_delay_alu instid0(VALU_DEP_2) | instskip(SKIP_2) | instid1(VALU_DEP_2)
	v_add_f64_e32 v[73:74], v[101:102], v[73:74]
	v_fma_f64 v[101:102], v[167:168], s[38:39], v[235:236]
	v_mul_f64_e32 v[235:236], s[36:37], v[193:194]
	v_add_f64_e32 v[99:100], v[101:102], v[99:100]
	v_fma_f64 v[101:102], v[183:184], s[34:35], -v[237:238]
	v_mul_f64_e32 v[237:238], s[2:3], v[211:212]
	s_delay_alu instid0(VALU_DEP_2) | instskip(SKIP_2) | instid1(VALU_DEP_2)
	v_add_f64_e32 v[73:74], v[101:102], v[73:74]
	v_fma_f64 v[101:102], v[187:188], s[20:21], v[247:248]
	v_mul_f64_e32 v[247:248], s[18:19], v[213:214]
	;; [unrolled: 7-line block ×3, first 2 shown]
	v_add_f64_e32 v[99:100], v[101:102], v[99:100]
	v_fma_f64 v[101:102], v[215:216], s[30:31], -v[253:254]
	v_mul_f64_e32 v[253:254], s[12:13], v[229:230]
	s_delay_alu instid0(VALU_DEP_3) | instskip(NEXT) | instid1(VALU_DEP_3)
	v_add_f64_e32 v[157:158], v[75:76], v[99:100]
	v_add_f64_e32 v[155:156], v[101:102], v[73:74]
	v_mul_f64_e32 v[73:74], s[40:41], v[131:132]
	v_mul_f64_e32 v[99:100], s[30:31], v[133:134]
	s_delay_alu instid0(VALU_DEP_2) | instskip(NEXT) | instid1(VALU_DEP_2)
	v_fma_f64 v[75:76], v[107:108], s[30:31], v[73:74]
	v_fma_f64 v[101:102], v[111:112], s[16:17], v[99:100]
	v_fma_f64 v[73:74], v[107:108], s[30:31], -v[73:74]
	v_fma_f64 v[99:100], v[111:112], s[40:41], v[99:100]
	s_delay_alu instid0(VALU_DEP_4) | instskip(NEXT) | instid1(VALU_DEP_4)
	v_add_f64_e32 v[75:76], v[75:76], v[149:150]
	v_add_f64_e32 v[101:102], v[101:102], v[147:148]
	s_delay_alu instid0(VALU_DEP_4) | instskip(NEXT) | instid1(VALU_DEP_4)
	v_add_f64_e32 v[73:74], v[73:74], v[137:138]
	v_add_f64_e32 v[99:100], v[99:100], v[135:136]
	s_delay_alu instid0(VALU_DEP_4) | instskip(SKIP_1) | instid1(VALU_DEP_1)
	v_add_f64_e32 v[75:76], v[105:106], v[75:76]
	v_mul_f64_e32 v[105:106], s[28:29], v[153:154]
	v_fma_f64 v[115:116], v[123:124], s[38:39], v[105:106]
	s_delay_alu instid0(VALU_DEP_1) | instskip(SKIP_1) | instid1(VALU_DEP_1)
	v_add_f64_e32 v[101:102], v[115:116], v[101:102]
	v_mul_f64_e32 v[115:116], s[50:51], v[171:172]
	v_fma_f64 v[117:118], v[139:140], s[24:25], v[115:116]
	s_delay_alu instid0(VALU_DEP_1) | instskip(SKIP_1) | instid1(VALU_DEP_1)
	;; [unrolled: 4-line block ×3, first 2 shown]
	v_add_f64_e32 v[101:102], v[147:148], v[101:102]
	v_fma_f64 v[147:148], v[161:162], s[36:37], v[165:166]
	v_add_f64_e32 v[75:76], v[147:148], v[75:76]
	v_fma_f64 v[147:148], v[167:168], s[42:43], v[235:236]
	s_delay_alu instid0(VALU_DEP_1) | instskip(SKIP_1) | instid1(VALU_DEP_1)
	v_add_f64_e32 v[101:102], v[147:148], v[101:102]
	v_fma_f64 v[147:148], v[183:184], s[18:19], v[237:238]
	v_add_f64_e32 v[75:76], v[147:148], v[75:76]
	v_fma_f64 v[147:148], v[187:188], s[54:55], v[247:248]
	s_delay_alu instid0(VALU_DEP_1) | instskip(SKIP_1) | instid1(VALU_DEP_1)
	;; [unrolled: 5-line block ×3, first 2 shown]
	v_add_f64_e32 v[101:102], v[147:148], v[101:102]
	v_fma_f64 v[147:148], v[215:216], s[26:27], v[253:254]
	v_add_f64_e32 v[147:148], v[147:148], v[75:76]
	v_mul_f64_e32 v[75:76], s[26:27], v[227:228]
	s_delay_alu instid0(VALU_DEP_1) | instskip(SKIP_1) | instid1(VALU_DEP_2)
	v_fma_f64 v[149:150], v[219:220], s[48:49], v[75:76]
	v_fma_f64 v[75:76], v[219:220], s[12:13], v[75:76]
	v_add_f64_e32 v[149:150], v[149:150], v[101:102]
	v_fma_f64 v[101:102], v[119:120], s[28:29], -v[103:104]
	v_mul_f64_e32 v[103:104], s[6:7], v[151:152]
	v_mul_f64_e32 v[151:152], s[40:41], v[211:212]
	s_delay_alu instid0(VALU_DEP_3) | instskip(SKIP_1) | instid1(VALU_DEP_4)
	v_add_f64_e32 v[73:74], v[101:102], v[73:74]
	v_fma_f64 v[101:102], v[123:124], s[14:15], v[105:106]
	v_fma_f64 v[105:106], v[119:120], s[22:23], v[103:104]
	s_delay_alu instid0(VALU_DEP_2) | instskip(SKIP_1) | instid1(VALU_DEP_1)
	v_add_f64_e32 v[99:100], v[101:102], v[99:100]
	v_fma_f64 v[101:102], v[139:140], s[24:25], -v[115:116]
	v_add_f64_e32 v[73:74], v[101:102], v[73:74]
	v_fma_f64 v[101:102], v[143:144], s[50:51], v[117:118]
	s_delay_alu instid0(VALU_DEP_1) | instskip(SKIP_2) | instid1(VALU_DEP_2)
	v_add_f64_e32 v[99:100], v[101:102], v[99:100]
	v_fma_f64 v[101:102], v[161:162], s[36:37], -v[165:166]
	v_mul_f64_e32 v[165:166], s[12:13], v[223:224]
	v_add_f64_e32 v[73:74], v[101:102], v[73:74]
	v_fma_f64 v[101:102], v[167:168], s[46:47], v[235:236]
	s_delay_alu instid0(VALU_DEP_1) | instskip(SKIP_1) | instid1(VALU_DEP_1)
	v_add_f64_e32 v[99:100], v[101:102], v[99:100]
	v_fma_f64 v[101:102], v[183:184], s[18:19], -v[237:238]
	v_add_f64_e32 v[73:74], v[101:102], v[73:74]
	v_fma_f64 v[101:102], v[187:188], s[2:3], v[247:248]
	s_delay_alu instid0(VALU_DEP_1) | instskip(SKIP_1) | instid1(VALU_DEP_1)
	v_add_f64_e32 v[99:100], v[101:102], v[99:100]
	v_fma_f64 v[101:102], v[203:204], s[34:35], -v[249:250]
	v_add_f64_e32 v[73:74], v[101:102], v[73:74]
	v_fma_f64 v[101:102], v[207:208], s[44:45], v[251:252]
	s_delay_alu instid0(VALU_DEP_1) | instskip(SKIP_1) | instid1(VALU_DEP_2)
	v_add_f64_e32 v[99:100], v[101:102], v[99:100]
	v_fma_f64 v[101:102], v[215:216], s[26:27], -v[253:254]
	v_add_f64_e32 v[137:138], v[75:76], v[99:100]
	s_delay_alu instid0(VALU_DEP_2)
	v_add_f64_e32 v[135:136], v[101:102], v[73:74]
	v_mul_f64_e32 v[73:74], s[42:43], v[131:132]
	v_mul_f64_e32 v[99:100], s[36:37], v[133:134]
	;; [unrolled: 1-line block ×5, first 2 shown]
	v_fma_f64 v[75:76], v[107:108], s[36:37], v[73:74]
	v_fma_f64 v[101:102], v[111:112], s[46:47], v[99:100]
	v_fma_f64 v[73:74], v[107:108], s[36:37], -v[73:74]
	s_delay_alu instid0(VALU_DEP_3) | instskip(NEXT) | instid1(VALU_DEP_3)
	v_add_f64_e32 v[75:76], v[75:76], v[129:130]
	v_add_f64_e32 v[101:102], v[101:102], v[127:128]
	s_delay_alu instid0(VALU_DEP_2) | instskip(SKIP_2) | instid1(VALU_DEP_2)
	v_add_f64_e32 v[75:76], v[105:106], v[75:76]
	v_mul_f64_e32 v[105:106], s[22:23], v[153:154]
	v_mul_f64_e32 v[153:154], s[30:31], v[213:214]
	v_fma_f64 v[115:116], v[123:124], s[52:53], v[105:106]
	s_delay_alu instid0(VALU_DEP_1) | instskip(SKIP_2) | instid1(VALU_DEP_2)
	v_add_f64_e32 v[101:102], v[115:116], v[101:102]
	v_mul_f64_e32 v[115:116], s[44:45], v[171:172]
	v_mul_f64_e32 v[171:172], s[26:27], v[225:226]
	v_fma_f64 v[117:118], v[139:140], s[34:35], v[115:116]
	s_delay_alu instid0(VALU_DEP_1) | instskip(SKIP_2) | instid1(VALU_DEP_2)
	v_add_f64_e32 v[75:76], v[117:118], v[75:76]
	v_mul_f64_e32 v[117:118], s[34:35], v[173:174]
	v_mul_f64_e32 v[173:174], s[38:39], v[229:230]
	v_fma_f64 v[127:128], v[143:144], s[20:21], v[117:118]
	s_delay_alu instid0(VALU_DEP_1) | instskip(SKIP_1) | instid1(VALU_DEP_1)
	v_add_f64_e32 v[101:102], v[127:128], v[101:102]
	v_fma_f64 v[127:128], v[161:162], s[24:25], v[131:132]
	v_add_f64_e32 v[75:76], v[127:128], v[75:76]
	v_fma_f64 v[127:128], v[167:168], s[50:51], v[133:134]
	s_delay_alu instid0(VALU_DEP_1) | instskip(SKIP_1) | instid1(VALU_DEP_1)
	v_add_f64_e32 v[101:102], v[127:128], v[101:102]
	v_fma_f64 v[127:128], v[183:184], s[30:31], v[151:152]
	v_add_f64_e32 v[75:76], v[127:128], v[75:76]
	;; [unrolled: 5-line block ×4, first 2 shown]
	v_fma_f64 v[75:76], v[219:220], s[14:15], v[191:192]
	s_delay_alu instid0(VALU_DEP_1)
	v_add_f64_e32 v[129:130], v[75:76], v[101:102]
	scratch_load_b64 v[75:76], off, off offset:52 th:TH_LOAD_LU ; 8-byte Folded Reload
	v_fma_f64 v[101:102], v[219:220], s[38:39], v[191:192]
	s_wait_loadcnt 0x0
	v_add_f64_e32 v[73:74], v[73:74], v[75:76]
	v_fma_f64 v[75:76], v[111:112], s[42:43], v[99:100]
	scratch_load_b64 v[99:100], off, off offset:44 th:TH_LOAD_LU ; 8-byte Folded Reload
	s_wait_loadcnt 0x0
	v_add_f64_e32 v[75:76], v[75:76], v[99:100]
	v_fma_f64 v[99:100], v[119:120], s[22:23], -v[103:104]
	s_delay_alu instid0(VALU_DEP_1) | instskip(SKIP_1) | instid1(VALU_DEP_1)
	v_add_f64_e32 v[73:74], v[99:100], v[73:74]
	v_fma_f64 v[99:100], v[123:124], s[6:7], v[105:106]
	v_add_f64_e32 v[75:76], v[99:100], v[75:76]
	v_fma_f64 v[99:100], v[139:140], s[34:35], -v[115:116]
	s_delay_alu instid0(VALU_DEP_1) | instskip(SKIP_1) | instid1(VALU_DEP_1)
	v_add_f64_e32 v[73:74], v[99:100], v[73:74]
	v_fma_f64 v[99:100], v[143:144], s[44:45], v[117:118]
	;; [unrolled: 5-line block ×5, first 2 shown]
	v_add_f64_e32 v[75:76], v[99:100], v[75:76]
	v_fma_f64 v[99:100], v[215:216], s[28:29], -v[173:174]
	s_delay_alu instid0(VALU_DEP_2) | instskip(NEXT) | instid1(VALU_DEP_2)
	v_add_f64_e32 v[117:118], v[101:102], v[75:76]
	v_add_f64_e32 v[115:116], v[99:100], v[73:74]
	scratch_load_b64 v[73:74], off, off offset:28 th:TH_LOAD_LU ; 8-byte Folded Reload
	s_wait_loadcnt 0x0
	v_add_f64_e32 v[0:1], v[73:74], v[0:1]
	scratch_load_b64 v[73:74], off, off offset:36 th:TH_LOAD_LU ; 8-byte Folded Reload
	v_add_f64_e32 v[0:1], v[0:1], v[24:25]
	s_delay_alu instid0(VALU_DEP_1) | instskip(SKIP_1) | instid1(VALU_DEP_2)
	v_add_f64_e32 v[0:1], v[0:1], v[28:29]
	v_fma_f64 v[28:29], v[119:120], s[30:31], -v[121:122]
	v_add_f64_e32 v[0:1], v[0:1], v[32:33]
	scratch_load_b64 v[32:33], off, off offset:12 th:TH_LOAD_LU ; 8-byte Folded Reload
	v_add_f64_e32 v[0:1], v[0:1], v[36:37]
	s_delay_alu instid0(VALU_DEP_1) | instskip(NEXT) | instid1(VALU_DEP_1)
	v_add_f64_e32 v[0:1], v[0:1], v[40:41]
	v_add_f64_e32 v[0:1], v[0:1], v[44:45]
	s_delay_alu instid0(VALU_DEP_1) | instskip(NEXT) | instid1(VALU_DEP_1)
	v_add_f64_e32 v[0:1], v[0:1], v[48:49]
	v_add_f64_e32 v[0:1], v[0:1], v[52:53]
	s_wait_loadcnt 0x1
	v_add_f64_e32 v[2:3], v[73:74], v[2:3]
	s_delay_alu instid0(VALU_DEP_2) | instskip(NEXT) | instid1(VALU_DEP_2)
	v_add_f64_e32 v[0:1], v[0:1], v[56:57]
	v_add_f64_e32 v[2:3], v[2:3], v[26:27]
	s_delay_alu instid0(VALU_DEP_2) | instskip(NEXT) | instid1(VALU_DEP_2)
	v_add_f64_e32 v[0:1], v[0:1], v[60:61]
	v_add_f64_e32 v[2:3], v[2:3], v[30:31]
	v_fma_f64 v[30:31], v[123:124], s[16:17], v[125:126]
	s_delay_alu instid0(VALU_DEP_3) | instskip(NEXT) | instid1(VALU_DEP_3)
	v_add_f64_e32 v[0:1], v[0:1], v[64:65]
	v_add_f64_e32 v[2:3], v[2:3], v[34:35]
	v_fma_f64 v[34:35], v[143:144], s[14:15], v[145:146]
	s_delay_alu instid0(VALU_DEP_3) | instskip(NEXT) | instid1(VALU_DEP_3)
	v_add_f64_e32 v[0:1], v[0:1], v[68:69]
	v_add_f64_e32 v[2:3], v[2:3], v[38:39]
	s_delay_alu instid0(VALU_DEP_2) | instskip(NEXT) | instid1(VALU_DEP_2)
	v_add_f64_e32 v[0:1], v[0:1], v[91:92]
	v_add_f64_e32 v[2:3], v[2:3], v[42:43]
	s_delay_alu instid0(VALU_DEP_2) | instskip(SKIP_1) | instid1(VALU_DEP_3)
	v_add_f64_e32 v[24:25], v[0:1], v[97:98]
	v_fma_f64 v[0:1], v[107:108], s[34:35], -v[109:110]
	v_add_f64_e32 v[2:3], v[2:3], v[46:47]
	s_wait_loadcnt 0x0
	s_delay_alu instid0(VALU_DEP_2)
	v_add_f64_e32 v[0:1], v[0:1], v[32:33]
	scratch_load_b64 v[32:33], off, off offset:20 th:TH_LOAD_LU ; 8-byte Folded Reload
	global_wb scope:SCOPE_SE
	s_wait_loadcnt 0x0
	s_wait_storecnt 0x0
	s_barrier_signal -1
	s_barrier_wait -1
	global_inv scope:SCOPE_SE
	v_add_f64_e32 v[2:3], v[2:3], v[50:51]
	v_add_f64_e32 v[0:1], v[28:29], v[0:1]
	v_fma_f64 v[28:29], v[161:162], s[26:27], -v[163:164]
	s_delay_alu instid0(VALU_DEP_3) | instskip(NEXT) | instid1(VALU_DEP_1)
	v_add_f64_e32 v[2:3], v[2:3], v[54:55]
	v_add_f64_e32 v[2:3], v[2:3], v[58:59]
	s_delay_alu instid0(VALU_DEP_1) | instskip(NEXT) | instid1(VALU_DEP_1)
	v_add_f64_e32 v[2:3], v[2:3], v[62:63]
	v_add_f64_e32 v[2:3], v[2:3], v[66:67]
	s_delay_alu instid0(VALU_DEP_1) | instskip(NEXT) | instid1(VALU_DEP_1)
	v_add_f64_e32 v[2:3], v[2:3], v[70:71]
	v_add_f64_e32 v[2:3], v[2:3], v[93:94]
	s_delay_alu instid0(VALU_DEP_1) | instskip(SKIP_1) | instid1(VALU_DEP_1)
	v_add_f64_e32 v[26:27], v[2:3], v[95:96]
	v_fma_f64 v[2:3], v[111:112], s[20:21], v[113:114]
	v_add_f64_e32 v[2:3], v[2:3], v[32:33]
	v_fma_f64 v[32:33], v[139:140], s[28:29], -v[141:142]
	s_delay_alu instid0(VALU_DEP_2) | instskip(NEXT) | instid1(VALU_DEP_2)
	v_add_f64_e32 v[2:3], v[30:31], v[2:3]
	v_add_f64_e32 v[0:1], v[32:33], v[0:1]
	v_fma_f64 v[30:31], v[167:168], s[12:13], v[169:170]
	s_delay_alu instid0(VALU_DEP_3) | instskip(NEXT) | instid1(VALU_DEP_3)
	v_add_f64_e32 v[2:3], v[34:35], v[2:3]
	v_add_f64_e32 v[0:1], v[28:29], v[0:1]
	v_fma_f64 v[28:29], v[183:184], s[24:25], -v[185:186]
	s_delay_alu instid0(VALU_DEP_3) | instskip(SKIP_1) | instid1(VALU_DEP_3)
	v_add_f64_e32 v[2:3], v[30:31], v[2:3]
	v_fma_f64 v[30:31], v[187:188], s[10:11], v[189:190]
	v_add_f64_e32 v[0:1], v[28:29], v[0:1]
	v_fma_f64 v[28:29], v[203:204], s[22:23], -v[205:206]
	s_delay_alu instid0(VALU_DEP_3) | instskip(SKIP_1) | instid1(VALU_DEP_3)
	v_add_f64_e32 v[2:3], v[30:31], v[2:3]
	v_fma_f64 v[30:31], v[207:208], s[6:7], v[209:210]
	;; [unrolled: 5-line block ×3, first 2 shown]
	v_add_f64_e32 v[0:1], v[28:29], v[0:1]
	s_wait_alu 0xf1ff
	v_cndmask_b32_e64 v28, 0, 0x1210, s1
	s_delay_alu instid0(VALU_DEP_1) | instskip(NEXT) | instid1(VALU_DEP_1)
	v_dual_mov_b32 v141, v83 :: v_dual_add_nc_u32 v28, 0, v28
	v_add3_u32 v28, v28, v89, v79
	ds_store_b128 v28, v[12:15] offset:544
	ds_store_b128 v28, v[20:23] offset:816
	;; [unrolled: 1-line block ×12, first 2 shown]
	v_add_f64_e32 v[2:3], v[30:31], v[2:3]
	ds_store_b128 v28, v[4:7] offset:272
	ds_store_b128 v28, v[24:27]
	ds_store_b128 v28, v[16:19] offset:3808
	ds_store_b128 v28, v[8:11] offset:4080
	;; [unrolled: 1-line block ×3, first 2 shown]
	global_wb scope:SCOPE_SE
	s_wait_dscnt 0x0
	s_barrier_signal -1
	s_barrier_wait -1
	global_inv scope:SCOPE_SE
	ds_load_b128 v[12:15], v231
	ds_load_b128 v[40:43], v234 offset:4624
	ds_load_b128 v[44:47], v234 offset:5168
	;; [unrolled: 1-line block ×3, first 2 shown]
	ds_load_b128 v[20:23], v242
	ds_load_b128 v[16:19], v241
	ds_load_b128 v[52:55], v234 offset:6256
	ds_load_b128 v[56:59], v234 offset:6800
	ds_load_b128 v[28:31], v239
	ds_load_b128 v[24:27], v159
	ds_load_b128 v[60:63], v234 offset:7344
	ds_load_b128 v[64:67], v234 offset:7888
	ds_load_b128 v[32:35], v255
	ds_load_b128 v[8:11], v232
	;; [unrolled: 1-line block ×3, first 2 shown]
	ds_load_b128 v[68:71], v234 offset:8432
                                        ; implicit-def: $vgpr6_vgpr7
	s_and_saveexec_b32 s1, s0
	s_cbranch_execz .LBB0_14
; %bb.13:
	ds_load_b128 v[0:3], v160
	ds_load_b128 v[4:7], v234 offset:8976
	v_mov_b32_e32 v88, v141
.LBB0_14:
	s_wait_alu 0xfffe
	s_or_b32 exec_lo, exec_lo, s1
	v_mov_b32_e32 v73, v90
	v_mov_b32_e32 v83, v90
	v_mov_b32_e32 v87, v90
	v_mov_b32_e32 v85, v90
	v_mov_b32_e32 v79, v90
	s_delay_alu instid0(VALU_DEP_4) | instskip(SKIP_3) | instid1(VALU_DEP_2)
	v_lshlrev_b64_e32 v[75:76], 4, v[82:83]
	v_mov_b32_e32 v82, v90
	v_lshlrev_b64_e32 v[91:92], 4, v[72:73]
	v_lshlrev_b64_e32 v[73:74], 4, v[86:87]
	v_add_co_u32 v97, s1, s4, v91
	s_wait_alu 0xf1ff
	s_delay_alu instid0(VALU_DEP_3) | instskip(NEXT) | instid1(VALU_DEP_3)
	v_add_co_ci_u32_e64 v98, s1, s5, v92, s1
	v_add_co_u32 v95, s1, s4, v73
	s_wait_alu 0xf1ff
	v_add_co_ci_u32_e64 v96, s1, s5, v74, s1
	v_lshlrev_b64_e32 v[73:74], 4, v[84:85]
	s_clause 0x1
	global_load_b128 v[99:102], v[97:98], off offset:4352
	global_load_b128 v[103:106], v[95:96], off offset:4352
	v_add_co_u32 v93, s1, s4, v73
	s_wait_alu 0xf1ff
	v_add_co_ci_u32_e64 v94, s1, s5, v74, s1
	v_lshlrev_b64_e32 v[73:74], 4, v[81:82]
	v_add_co_u32 v85, s1, s4, v75
	v_mov_b32_e32 v81, v90
	s_wait_alu 0xf1ff
	v_add_co_ci_u32_e64 v86, s1, s5, v76, s1
	s_delay_alu instid0(VALU_DEP_4)
	v_add_co_u32 v83, s1, s4, v73
	s_wait_alu 0xf1ff
	v_add_co_ci_u32_e64 v84, s1, s5, v74, s1
	v_lshlrev_b64_e32 v[73:74], 4, v[80:81]
	v_lshlrev_b64_e32 v[75:76], 4, v[78:79]
	v_mov_b32_e32 v78, v90
	s_clause 0x2
	global_load_b128 v[107:110], v[93:94], off offset:4352
	global_load_b128 v[111:114], v[85:86], off offset:4352
	;; [unrolled: 1-line block ×3, first 2 shown]
	v_add_co_u32 v81, s1, s4, v73
	s_wait_alu 0xf1ff
	v_add_co_ci_u32_e64 v82, s1, s5, v74, s1
	v_lshlrev_b64_e32 v[73:74], 4, v[77:78]
	v_add_co_u32 v79, s1, s4, v75
	s_wait_alu 0xf1ff
	v_add_co_ci_u32_e64 v80, s1, s5, v76, s1
	s_delay_alu instid0(VALU_DEP_3)
	v_add_co_u32 v77, s1, s4, v73
	s_wait_alu 0xf1ff
	v_add_co_ci_u32_e64 v78, s1, s5, v74, s1
	s_clause 0x2
	global_load_b128 v[119:122], v[81:82], off offset:4352
	global_load_b128 v[123:126], v[79:80], off offset:4352
	global_load_b128 v[127:130], v[77:78], off offset:4352
	global_wb scope:SCOPE_SE
	s_wait_loadcnt_dscnt 0x0
	s_barrier_signal -1
	s_barrier_wait -1
	global_inv scope:SCOPE_SE
	v_mul_f64_e32 v[73:74], v[42:43], v[101:102]
	v_mul_f64_e32 v[75:76], v[40:41], v[101:102]
	;; [unrolled: 1-line block ×16, first 2 shown]
	v_fma_f64 v[40:41], v[40:41], v[99:100], v[73:74]
	v_fma_f64 v[42:43], v[42:43], v[99:100], -v[75:76]
	v_fma_f64 v[44:45], v[44:45], v[103:104], v[89:90]
	v_fma_f64 v[46:47], v[46:47], v[103:104], -v[101:102]
	;; [unrolled: 2-line block ×8, first 2 shown]
	v_add_f64_e64 v[40:41], v[12:13], -v[40:41]
	v_add_f64_e64 v[42:43], v[14:15], -v[42:43]
	v_add_f64_e64 v[44:45], v[36:37], -v[44:45]
	v_add_f64_e64 v[46:47], v[38:39], -v[46:47]
	v_add_f64_e64 v[48:49], v[20:21], -v[48:49]
	v_add_f64_e64 v[50:51], v[22:23], -v[50:51]
	v_add_f64_e64 v[52:53], v[16:17], -v[52:53]
	v_add_f64_e64 v[54:55], v[18:19], -v[54:55]
	v_add_f64_e64 v[56:57], v[28:29], -v[56:57]
	v_add_f64_e64 v[58:59], v[30:31], -v[58:59]
	v_add_f64_e64 v[60:61], v[24:25], -v[60:61]
	v_add_f64_e64 v[62:63], v[26:27], -v[62:63]
	v_add_f64_e64 v[64:65], v[32:33], -v[64:65]
	v_add_f64_e64 v[66:67], v[34:35], -v[66:67]
	v_add_f64_e64 v[68:69], v[8:9], -v[68:69]
	v_add_f64_e64 v[70:71], v[10:11], -v[70:71]
	v_fma_f64 v[12:13], v[12:13], 2.0, -v[40:41]
	v_fma_f64 v[14:15], v[14:15], 2.0, -v[42:43]
	v_fma_f64 v[36:37], v[36:37], 2.0, -v[44:45]
	v_fma_f64 v[38:39], v[38:39], 2.0, -v[46:47]
	v_fma_f64 v[20:21], v[20:21], 2.0, -v[48:49]
	v_fma_f64 v[22:23], v[22:23], 2.0, -v[50:51]
	v_fma_f64 v[16:17], v[16:17], 2.0, -v[52:53]
	v_fma_f64 v[18:19], v[18:19], 2.0, -v[54:55]
	v_fma_f64 v[28:29], v[28:29], 2.0, -v[56:57]
	v_fma_f64 v[30:31], v[30:31], 2.0, -v[58:59]
	v_fma_f64 v[24:25], v[24:25], 2.0, -v[60:61]
	v_fma_f64 v[26:27], v[26:27], 2.0, -v[62:63]
	v_fma_f64 v[32:33], v[32:33], 2.0, -v[64:65]
	v_fma_f64 v[34:35], v[34:35], 2.0, -v[66:67]
	v_fma_f64 v[8:9], v[8:9], 2.0, -v[68:69]
	v_fma_f64 v[10:11], v[10:11], 2.0, -v[70:71]
	ds_store_b128 v234, v[12:15]
	ds_store_b128 v234, v[40:43] offset:4624
	ds_store_b128 v240, v[36:39]
	ds_store_b128 v240, v[44:47] offset:4624
	;; [unrolled: 2-line block ×8, first 2 shown]
	s_and_saveexec_b32 s2, s0
	s_cbranch_execz .LBB0_16
; %bb.15:
	v_mov_b32_e32 v89, 0
	s_delay_alu instid0(VALU_DEP_1) | instskip(NEXT) | instid1(VALU_DEP_1)
	v_lshlrev_b64_e32 v[8:9], 4, v[88:89]
	v_add_co_u32 v8, s1, s4, v8
	s_wait_alu 0xf1ff
	s_delay_alu instid0(VALU_DEP_2) | instskip(SKIP_4) | instid1(VALU_DEP_2)
	v_add_co_ci_u32_e64 v9, s1, s5, v9, s1
	global_load_b128 v[8:11], v[8:9], off offset:4352
	s_wait_loadcnt 0x0
	v_mul_f64_e32 v[12:13], v[4:5], v[10:11]
	v_mul_f64_e32 v[10:11], v[6:7], v[10:11]
	v_fma_f64 v[6:7], v[6:7], v[8:9], -v[12:13]
	s_delay_alu instid0(VALU_DEP_2) | instskip(NEXT) | instid1(VALU_DEP_2)
	v_fma_f64 v[4:5], v[4:5], v[8:9], v[10:11]
	v_add_f64_e64 v[6:7], v[2:3], -v[6:7]
	s_delay_alu instid0(VALU_DEP_2) | instskip(NEXT) | instid1(VALU_DEP_2)
	v_add_f64_e64 v[4:5], v[0:1], -v[4:5]
	v_fma_f64 v[2:3], v[2:3], 2.0, -v[6:7]
	s_delay_alu instid0(VALU_DEP_2)
	v_fma_f64 v[0:1], v[0:1], 2.0, -v[4:5]
	ds_store_b128 v234, v[0:3] offset:4352
	ds_store_b128 v234, v[4:7] offset:8976
.LBB0_16:
	s_wait_alu 0xfffe
	s_or_b32 exec_lo, exec_lo, s2
	global_wb scope:SCOPE_SE
	s_wait_dscnt 0x0
	s_barrier_signal -1
	s_barrier_wait -1
	global_inv scope:SCOPE_SE
	scratch_load_b32 v0, off, off offset:8 th:TH_LOAD_LU ; 4-byte Folded Reload
	ds_load_b128 v[8:11], v231
	v_cmp_ne_u32_e64 s1, 0, v72
                                        ; implicit-def: $vgpr2_vgpr3
                                        ; implicit-def: $vgpr6_vgpr7
	s_wait_loadcnt 0x0
	v_sub_nc_u32_e32 v12, v233, v0
	s_delay_alu instid0(VALU_DEP_2)
	s_and_saveexec_b32 s2, s1
	s_wait_alu 0xfffe
	s_xor_b32 s1, exec_lo, s2
	s_cbranch_execz .LBB0_18
; %bb.17:
	global_load_b128 v[2:5], v[97:98], off offset:8976
	ds_load_b128 v[13:16], v12 offset:9248
                                        ; implicit-def: $vgpr233
	s_wait_dscnt 0x0
	v_add_f64_e64 v[0:1], v[8:9], -v[13:14]
	v_add_f64_e32 v[6:7], v[10:11], v[15:16]
	v_add_f64_e64 v[10:11], v[10:11], -v[15:16]
	s_delay_alu instid0(VALU_DEP_3) | instskip(SKIP_1) | instid1(VALU_DEP_4)
	v_mul_f64_e32 v[15:16], 0.5, v[0:1]
	v_add_f64_e32 v[0:1], v[8:9], v[13:14]
	v_mul_f64_e32 v[8:9], 0.5, v[6:7]
	s_delay_alu instid0(VALU_DEP_4) | instskip(SKIP_1) | instid1(VALU_DEP_4)
	v_mul_f64_e32 v[6:7], 0.5, v[10:11]
	s_wait_loadcnt 0x0
	v_mul_f64_e32 v[10:11], v[15:16], v[4:5]
	s_delay_alu instid0(VALU_DEP_2) | instskip(NEXT) | instid1(VALU_DEP_2)
	v_fma_f64 v[13:14], v[8:9], v[4:5], v[6:7]
	v_fma_f64 v[17:18], v[0:1], 0.5, v[10:11]
	v_fma_f64 v[0:1], v[0:1], 0.5, -v[10:11]
	v_fma_f64 v[10:11], v[8:9], v[4:5], -v[6:7]
	s_delay_alu instid0(VALU_DEP_4) | instskip(NEXT) | instid1(VALU_DEP_4)
	v_fma_f64 v[6:7], -v[2:3], v[15:16], v[13:14]
	v_fma_f64 v[4:5], v[8:9], v[2:3], v[17:18]
	s_delay_alu instid0(VALU_DEP_4) | instskip(NEXT) | instid1(VALU_DEP_4)
	v_fma_f64 v[0:1], -v[8:9], v[2:3], v[0:1]
	v_fma_f64 v[2:3], -v[2:3], v[15:16], v[10:11]
                                        ; implicit-def: $vgpr8_vgpr9
.LBB0_18:
	s_wait_alu 0xfffe
	s_and_not1_saveexec_b32 s1, s1
	s_cbranch_execz .LBB0_20
; %bb.19:
	s_wait_dscnt 0x0
	v_add_f64_e32 v[4:5], v[8:9], v[10:11]
	v_add_f64_e64 v[0:1], v[8:9], -v[10:11]
	ds_load_b64 v[8:9], v233 offset:4632
	v_mov_b32_e32 v6, 0
	v_mov_b32_e32 v7, 0
	s_delay_alu instid0(VALU_DEP_1)
	v_dual_mov_b32 v2, v6 :: v_dual_mov_b32 v3, v7
	s_wait_dscnt 0x0
	v_xor_b32_e32 v9, 0x80000000, v9
	ds_store_b64 v233, v[8:9] offset:4632
.LBB0_20:
	s_wait_alu 0xfffe
	s_or_b32 exec_lo, exec_lo, s1
	s_wait_dscnt 0x0
	s_clause 0x1
	global_load_b128 v[8:11], v[95:96], off offset:8976
	global_load_b128 v[13:16], v[93:94], off offset:8976
	ds_store_b128 v231, v[4:7]
	ds_store_b128 v12, v[0:3] offset:9248
	ds_load_b128 v[0:3], v240
	ds_load_b128 v[4:7], v12 offset:8704
	s_wait_dscnt 0x0
	v_add_f64_e64 v[17:18], v[0:1], -v[4:5]
	v_add_f64_e32 v[19:20], v[2:3], v[6:7]
	v_add_f64_e64 v[2:3], v[2:3], -v[6:7]
	v_add_f64_e32 v[0:1], v[0:1], v[4:5]
	s_delay_alu instid0(VALU_DEP_4) | instskip(NEXT) | instid1(VALU_DEP_4)
	v_mul_f64_e32 v[6:7], 0.5, v[17:18]
	v_mul_f64_e32 v[17:18], 0.5, v[19:20]
	s_delay_alu instid0(VALU_DEP_4) | instskip(SKIP_1) | instid1(VALU_DEP_3)
	v_mul_f64_e32 v[2:3], 0.5, v[2:3]
	s_wait_loadcnt 0x1
	v_mul_f64_e32 v[4:5], v[6:7], v[10:11]
	s_delay_alu instid0(VALU_DEP_2) | instskip(SKIP_1) | instid1(VALU_DEP_3)
	v_fma_f64 v[19:20], v[17:18], v[10:11], v[2:3]
	v_fma_f64 v[10:11], v[17:18], v[10:11], -v[2:3]
	v_fma_f64 v[21:22], v[0:1], 0.5, v[4:5]
	v_fma_f64 v[4:5], v[0:1], 0.5, -v[4:5]
	s_delay_alu instid0(VALU_DEP_4) | instskip(NEXT) | instid1(VALU_DEP_4)
	v_fma_f64 v[2:3], -v[8:9], v[6:7], v[19:20]
	v_fma_f64 v[6:7], -v[8:9], v[6:7], v[10:11]
	s_delay_alu instid0(VALU_DEP_4) | instskip(NEXT) | instid1(VALU_DEP_4)
	v_fma_f64 v[0:1], v[17:18], v[8:9], v[21:22]
	v_fma_f64 v[4:5], -v[17:18], v[8:9], v[4:5]
	global_load_b128 v[8:11], v[85:86], off offset:8976
	ds_store_b128 v240, v[0:3]
	ds_store_b128 v12, v[4:7] offset:8704
	ds_load_b128 v[0:3], v242
	ds_load_b128 v[4:7], v12 offset:8160
	s_wait_dscnt 0x0
	v_add_f64_e64 v[17:18], v[0:1], -v[4:5]
	v_add_f64_e32 v[19:20], v[2:3], v[6:7]
	v_add_f64_e64 v[2:3], v[2:3], -v[6:7]
	v_add_f64_e32 v[0:1], v[0:1], v[4:5]
	s_delay_alu instid0(VALU_DEP_4) | instskip(NEXT) | instid1(VALU_DEP_4)
	v_mul_f64_e32 v[6:7], 0.5, v[17:18]
	v_mul_f64_e32 v[17:18], 0.5, v[19:20]
	s_delay_alu instid0(VALU_DEP_4) | instskip(SKIP_1) | instid1(VALU_DEP_3)
	v_mul_f64_e32 v[2:3], 0.5, v[2:3]
	s_wait_loadcnt 0x1
	v_mul_f64_e32 v[4:5], v[6:7], v[15:16]
	s_delay_alu instid0(VALU_DEP_2) | instskip(SKIP_1) | instid1(VALU_DEP_3)
	v_fma_f64 v[19:20], v[17:18], v[15:16], v[2:3]
	v_fma_f64 v[15:16], v[17:18], v[15:16], -v[2:3]
	v_fma_f64 v[21:22], v[0:1], 0.5, v[4:5]
	v_fma_f64 v[4:5], v[0:1], 0.5, -v[4:5]
	s_delay_alu instid0(VALU_DEP_4) | instskip(NEXT) | instid1(VALU_DEP_4)
	v_fma_f64 v[2:3], -v[13:14], v[6:7], v[19:20]
	v_fma_f64 v[6:7], -v[13:14], v[6:7], v[15:16]
	s_delay_alu instid0(VALU_DEP_4) | instskip(NEXT) | instid1(VALU_DEP_4)
	v_fma_f64 v[0:1], v[17:18], v[13:14], v[21:22]
	v_fma_f64 v[4:5], -v[17:18], v[13:14], v[4:5]
	;; [unrolled: 28-line block ×6, first 2 shown]
	ds_store_b128 v255, v[0:3]
	ds_store_b128 v12, v[4:7] offset:5984
	ds_load_b128 v[0:3], v232
	ds_load_b128 v[4:7], v12 offset:5440
	s_wait_dscnt 0x0
	v_add_f64_e64 v[13:14], v[0:1], -v[4:5]
	v_add_f64_e32 v[15:16], v[2:3], v[6:7]
	v_add_f64_e64 v[2:3], v[2:3], -v[6:7]
	v_add_f64_e32 v[0:1], v[0:1], v[4:5]
	s_delay_alu instid0(VALU_DEP_4) | instskip(NEXT) | instid1(VALU_DEP_4)
	v_mul_f64_e32 v[6:7], 0.5, v[13:14]
	v_mul_f64_e32 v[13:14], 0.5, v[15:16]
	s_delay_alu instid0(VALU_DEP_4) | instskip(SKIP_1) | instid1(VALU_DEP_3)
	v_mul_f64_e32 v[2:3], 0.5, v[2:3]
	s_wait_loadcnt 0x0
	v_mul_f64_e32 v[4:5], v[6:7], v[10:11]
	s_delay_alu instid0(VALU_DEP_2) | instskip(SKIP_1) | instid1(VALU_DEP_3)
	v_fma_f64 v[15:16], v[13:14], v[10:11], v[2:3]
	v_fma_f64 v[10:11], v[13:14], v[10:11], -v[2:3]
	v_fma_f64 v[17:18], v[0:1], 0.5, v[4:5]
	v_fma_f64 v[4:5], v[0:1], 0.5, -v[4:5]
	s_delay_alu instid0(VALU_DEP_4) | instskip(NEXT) | instid1(VALU_DEP_4)
	v_fma_f64 v[2:3], -v[8:9], v[6:7], v[15:16]
	v_fma_f64 v[6:7], -v[8:9], v[6:7], v[10:11]
	s_delay_alu instid0(VALU_DEP_4) | instskip(NEXT) | instid1(VALU_DEP_4)
	v_fma_f64 v[0:1], v[13:14], v[8:9], v[17:18]
	v_fma_f64 v[4:5], -v[13:14], v[8:9], v[4:5]
	ds_store_b128 v232, v[0:3]
	ds_store_b128 v12, v[4:7] offset:5440
	s_and_saveexec_b32 s1, s0
	s_cbranch_execz .LBB0_22
; %bb.21:
	v_mov_b32_e32 v142, 0
	s_delay_alu instid0(VALU_DEP_1) | instskip(NEXT) | instid1(VALU_DEP_1)
	v_lshlrev_b64_e32 v[0:1], 4, v[141:142]
	v_add_co_u32 v0, s0, s4, v0
	s_wait_alu 0xf1ff
	s_delay_alu instid0(VALU_DEP_2)
	v_add_co_ci_u32_e64 v1, s0, s5, v1, s0
	global_load_b128 v[0:3], v[0:1], off offset:8976
	ds_load_b128 v[4:7], v160
	ds_load_b128 v[8:11], v12 offset:4896
	s_wait_dscnt 0x0
	v_add_f64_e64 v[13:14], v[4:5], -v[8:9]
	v_add_f64_e32 v[15:16], v[6:7], v[10:11]
	v_add_f64_e64 v[6:7], v[6:7], -v[10:11]
	v_add_f64_e32 v[4:5], v[4:5], v[8:9]
	s_delay_alu instid0(VALU_DEP_4) | instskip(NEXT) | instid1(VALU_DEP_4)
	v_mul_f64_e32 v[10:11], 0.5, v[13:14]
	v_mul_f64_e32 v[13:14], 0.5, v[15:16]
	s_delay_alu instid0(VALU_DEP_4) | instskip(SKIP_1) | instid1(VALU_DEP_3)
	v_mul_f64_e32 v[6:7], 0.5, v[6:7]
	s_wait_loadcnt 0x0
	v_mul_f64_e32 v[8:9], v[10:11], v[2:3]
	s_delay_alu instid0(VALU_DEP_2) | instskip(SKIP_1) | instid1(VALU_DEP_3)
	v_fma_f64 v[15:16], v[13:14], v[2:3], v[6:7]
	v_fma_f64 v[2:3], v[13:14], v[2:3], -v[6:7]
	v_fma_f64 v[6:7], v[4:5], 0.5, v[8:9]
	v_fma_f64 v[17:18], v[4:5], 0.5, -v[8:9]
	s_delay_alu instid0(VALU_DEP_4) | instskip(NEXT) | instid1(VALU_DEP_4)
	v_fma_f64 v[4:5], -v[0:1], v[10:11], v[15:16]
	v_fma_f64 v[8:9], -v[0:1], v[10:11], v[2:3]
	s_delay_alu instid0(VALU_DEP_4) | instskip(NEXT) | instid1(VALU_DEP_4)
	v_fma_f64 v[2:3], v[13:14], v[0:1], v[6:7]
	v_fma_f64 v[6:7], -v[13:14], v[0:1], v[17:18]
	ds_store_b128 v160, v[2:5]
	ds_store_b128 v12, v[6:9] offset:4896
.LBB0_22:
	s_wait_alu 0xfffe
	s_or_b32 exec_lo, exec_lo, s1
	global_wb scope:SCOPE_SE
	s_wait_dscnt 0x0
	s_barrier_signal -1
	s_barrier_wait -1
	global_inv scope:SCOPE_SE
	s_and_saveexec_b32 s0, vcc_lo
	s_cbranch_execz .LBB0_25
; %bb.23:
	scratch_load_b64 v[0:1], off, off th:TH_LOAD_LU ; 8-byte Folded Reload
	ds_load_b128 v[2:5], v231
	ds_load_b128 v[6:9], v231 offset:544
	ds_load_b128 v[10:13], v231 offset:1088
	;; [unrolled: 1-line block ×16, first 2 shown]
	s_wait_loadcnt 0x0
	v_add_co_u32 v0, vcc_lo, s8, v0
	s_wait_alu 0xfffd
	v_add_co_ci_u32_e32 v1, vcc_lo, s9, v1, vcc_lo
	s_delay_alu instid0(VALU_DEP_2) | instskip(SKIP_1) | instid1(VALU_DEP_2)
	v_add_co_u32 v70, vcc_lo, v0, v91
	s_wait_alu 0xfffd
	v_add_co_ci_u32_e32 v71, vcc_lo, v1, v92, vcc_lo
	v_cmp_eq_u32_e32 vcc_lo, 33, v72
	s_wait_dscnt 0x10
	global_store_b128 v[70:71], v[2:5], off
	s_wait_dscnt 0xf
	global_store_b128 v[70:71], v[6:9], off offset:544
	s_wait_dscnt 0xe
	global_store_b128 v[70:71], v[10:13], off offset:1088
	;; [unrolled: 2-line block ×16, first 2 shown]
	s_and_b32 exec_lo, exec_lo, vcc_lo
	s_cbranch_execz .LBB0_25
; %bb.24:
	ds_load_b128 v[2:5], v231 offset:8720
	s_wait_dscnt 0x0
	global_store_b128 v[0:1], v[2:5], off offset:9248
.LBB0_25:
	s_nop 0
	s_sendmsg sendmsg(MSG_DEALLOC_VGPRS)
	s_endpgm
	.section	.rodata,"a",@progbits
	.p2align	6, 0x0
	.amdhsa_kernel fft_rtc_back_len578_factors_17_17_2_wgs_238_tpt_34_halfLds_dp_ip_CI_unitstride_sbrr_R2C_dirReg
		.amdhsa_group_segment_fixed_size 0
		.amdhsa_private_segment_fixed_size 64
		.amdhsa_kernarg_size 88
		.amdhsa_user_sgpr_count 2
		.amdhsa_user_sgpr_dispatch_ptr 0
		.amdhsa_user_sgpr_queue_ptr 0
		.amdhsa_user_sgpr_kernarg_segment_ptr 1
		.amdhsa_user_sgpr_dispatch_id 0
		.amdhsa_user_sgpr_private_segment_size 0
		.amdhsa_wavefront_size32 1
		.amdhsa_uses_dynamic_stack 0
		.amdhsa_enable_private_segment 1
		.amdhsa_system_sgpr_workgroup_id_x 1
		.amdhsa_system_sgpr_workgroup_id_y 0
		.amdhsa_system_sgpr_workgroup_id_z 0
		.amdhsa_system_sgpr_workgroup_info 0
		.amdhsa_system_vgpr_workitem_id 0
		.amdhsa_next_free_vgpr 256
		.amdhsa_next_free_sgpr 56
		.amdhsa_reserve_vcc 1
		.amdhsa_float_round_mode_32 0
		.amdhsa_float_round_mode_16_64 0
		.amdhsa_float_denorm_mode_32 3
		.amdhsa_float_denorm_mode_16_64 3
		.amdhsa_fp16_overflow 0
		.amdhsa_workgroup_processor_mode 1
		.amdhsa_memory_ordered 1
		.amdhsa_forward_progress 0
		.amdhsa_round_robin_scheduling 0
		.amdhsa_exception_fp_ieee_invalid_op 0
		.amdhsa_exception_fp_denorm_src 0
		.amdhsa_exception_fp_ieee_div_zero 0
		.amdhsa_exception_fp_ieee_overflow 0
		.amdhsa_exception_fp_ieee_underflow 0
		.amdhsa_exception_fp_ieee_inexact 0
		.amdhsa_exception_int_div_zero 0
	.end_amdhsa_kernel
	.text
.Lfunc_end0:
	.size	fft_rtc_back_len578_factors_17_17_2_wgs_238_tpt_34_halfLds_dp_ip_CI_unitstride_sbrr_R2C_dirReg, .Lfunc_end0-fft_rtc_back_len578_factors_17_17_2_wgs_238_tpt_34_halfLds_dp_ip_CI_unitstride_sbrr_R2C_dirReg
                                        ; -- End function
	.section	.AMDGPU.csdata,"",@progbits
; Kernel info:
; codeLenInByte = 16828
; NumSgprs: 58
; NumVgprs: 256
; ScratchSize: 64
; MemoryBound: 0
; FloatMode: 240
; IeeeMode: 1
; LDSByteSize: 0 bytes/workgroup (compile time only)
; SGPRBlocks: 7
; VGPRBlocks: 31
; NumSGPRsForWavesPerEU: 58
; NumVGPRsForWavesPerEU: 256
; Occupancy: 5
; WaveLimiterHint : 1
; COMPUTE_PGM_RSRC2:SCRATCH_EN: 1
; COMPUTE_PGM_RSRC2:USER_SGPR: 2
; COMPUTE_PGM_RSRC2:TRAP_HANDLER: 0
; COMPUTE_PGM_RSRC2:TGID_X_EN: 1
; COMPUTE_PGM_RSRC2:TGID_Y_EN: 0
; COMPUTE_PGM_RSRC2:TGID_Z_EN: 0
; COMPUTE_PGM_RSRC2:TIDIG_COMP_CNT: 0
	.text
	.p2alignl 7, 3214868480
	.fill 96, 4, 3214868480
	.type	__hip_cuid_bc90513e5da56035,@object ; @__hip_cuid_bc90513e5da56035
	.section	.bss,"aw",@nobits
	.globl	__hip_cuid_bc90513e5da56035
__hip_cuid_bc90513e5da56035:
	.byte	0                               ; 0x0
	.size	__hip_cuid_bc90513e5da56035, 1

	.ident	"AMD clang version 19.0.0git (https://github.com/RadeonOpenCompute/llvm-project roc-6.4.0 25133 c7fe45cf4b819c5991fe208aaa96edf142730f1d)"
	.section	".note.GNU-stack","",@progbits
	.addrsig
	.addrsig_sym __hip_cuid_bc90513e5da56035
	.amdgpu_metadata
---
amdhsa.kernels:
  - .args:
      - .actual_access:  read_only
        .address_space:  global
        .offset:         0
        .size:           8
        .value_kind:     global_buffer
      - .offset:         8
        .size:           8
        .value_kind:     by_value
      - .actual_access:  read_only
        .address_space:  global
        .offset:         16
        .size:           8
        .value_kind:     global_buffer
      - .actual_access:  read_only
        .address_space:  global
        .offset:         24
        .size:           8
        .value_kind:     global_buffer
      - .offset:         32
        .size:           8
        .value_kind:     by_value
      - .actual_access:  read_only
        .address_space:  global
        .offset:         40
        .size:           8
        .value_kind:     global_buffer
      - .actual_access:  read_only
        .address_space:  global
        .offset:         48
        .size:           8
        .value_kind:     global_buffer
      - .offset:         56
        .size:           4
        .value_kind:     by_value
      - .actual_access:  read_only
        .address_space:  global
        .offset:         64
        .size:           8
        .value_kind:     global_buffer
      - .actual_access:  read_only
        .address_space:  global
        .offset:         72
        .size:           8
        .value_kind:     global_buffer
      - .address_space:  global
        .offset:         80
        .size:           8
        .value_kind:     global_buffer
    .group_segment_fixed_size: 0
    .kernarg_segment_align: 8
    .kernarg_segment_size: 88
    .language:       OpenCL C
    .language_version:
      - 2
      - 0
    .max_flat_workgroup_size: 238
    .name:           fft_rtc_back_len578_factors_17_17_2_wgs_238_tpt_34_halfLds_dp_ip_CI_unitstride_sbrr_R2C_dirReg
    .private_segment_fixed_size: 64
    .sgpr_count:     58
    .sgpr_spill_count: 0
    .symbol:         fft_rtc_back_len578_factors_17_17_2_wgs_238_tpt_34_halfLds_dp_ip_CI_unitstride_sbrr_R2C_dirReg.kd
    .uniform_work_group_size: 1
    .uses_dynamic_stack: false
    .vgpr_count:     256
    .vgpr_spill_count: 15
    .wavefront_size: 32
    .workgroup_processor_mode: 1
amdhsa.target:   amdgcn-amd-amdhsa--gfx1201
amdhsa.version:
  - 1
  - 2
...

	.end_amdgpu_metadata
